;; amdgpu-corpus repo=ROCm/rocFFT kind=compiled arch=gfx906 opt=O3
	.text
	.amdgcn_target "amdgcn-amd-amdhsa--gfx906"
	.amdhsa_code_object_version 6
	.protected	fft_rtc_back_len1734_factors_17_17_6_wgs_102_tpt_102_halfLds_half_ip_CI_unitstride_sbrr_dirReg ; -- Begin function fft_rtc_back_len1734_factors_17_17_6_wgs_102_tpt_102_halfLds_half_ip_CI_unitstride_sbrr_dirReg
	.globl	fft_rtc_back_len1734_factors_17_17_6_wgs_102_tpt_102_halfLds_half_ip_CI_unitstride_sbrr_dirReg
	.p2align	8
	.type	fft_rtc_back_len1734_factors_17_17_6_wgs_102_tpt_102_halfLds_half_ip_CI_unitstride_sbrr_dirReg,@function
fft_rtc_back_len1734_factors_17_17_6_wgs_102_tpt_102_halfLds_half_ip_CI_unitstride_sbrr_dirReg: ; @fft_rtc_back_len1734_factors_17_17_6_wgs_102_tpt_102_halfLds_half_ip_CI_unitstride_sbrr_dirReg
; %bb.0:
	s_load_dwordx2 s[2:3], s[4:5], 0x50
	s_load_dwordx4 s[8:11], s[4:5], 0x0
	s_load_dwordx2 s[12:13], s[4:5], 0x18
	v_mul_u32_u24_e32 v1, 0x283, v0
	v_add_u32_sdwa v5, s6, v1 dst_sel:DWORD dst_unused:UNUSED_PAD src0_sel:DWORD src1_sel:WORD_1
	v_mov_b32_e32 v3, 0
	s_waitcnt lgkmcnt(0)
	v_cmp_lt_u64_e64 s[0:1], s[10:11], 2
	v_mov_b32_e32 v1, 0
	v_mov_b32_e32 v6, v3
	s_and_b64 vcc, exec, s[0:1]
	v_mov_b32_e32 v2, 0
	s_cbranch_vccnz .LBB0_8
; %bb.1:
	s_load_dwordx2 s[0:1], s[4:5], 0x10
	s_add_u32 s6, s12, 8
	s_addc_u32 s7, s13, 0
	v_mov_b32_e32 v1, 0
	v_mov_b32_e32 v2, 0
	s_waitcnt lgkmcnt(0)
	s_add_u32 s14, s0, 8
	s_addc_u32 s15, s1, 0
	s_mov_b64 s[16:17], 1
.LBB0_2:                                ; =>This Inner Loop Header: Depth=1
	s_load_dwordx2 s[18:19], s[14:15], 0x0
                                        ; implicit-def: $vgpr7_vgpr8
	s_waitcnt lgkmcnt(0)
	v_or_b32_e32 v4, s19, v6
	v_cmp_ne_u64_e32 vcc, 0, v[3:4]
	s_and_saveexec_b64 s[0:1], vcc
	s_xor_b64 s[20:21], exec, s[0:1]
	s_cbranch_execz .LBB0_4
; %bb.3:                                ;   in Loop: Header=BB0_2 Depth=1
	v_cvt_f32_u32_e32 v4, s18
	v_cvt_f32_u32_e32 v7, s19
	s_sub_u32 s0, 0, s18
	s_subb_u32 s1, 0, s19
	v_mac_f32_e32 v4, 0x4f800000, v7
	v_rcp_f32_e32 v4, v4
	v_mul_f32_e32 v4, 0x5f7ffffc, v4
	v_mul_f32_e32 v7, 0x2f800000, v4
	v_trunc_f32_e32 v7, v7
	v_mac_f32_e32 v4, 0xcf800000, v7
	v_cvt_u32_f32_e32 v7, v7
	v_cvt_u32_f32_e32 v4, v4
	v_mul_lo_u32 v8, s0, v7
	v_mul_hi_u32 v9, s0, v4
	v_mul_lo_u32 v11, s1, v4
	v_mul_lo_u32 v10, s0, v4
	v_add_u32_e32 v8, v9, v8
	v_add_u32_e32 v8, v8, v11
	v_mul_hi_u32 v9, v4, v10
	v_mul_lo_u32 v11, v4, v8
	v_mul_hi_u32 v13, v4, v8
	v_mul_hi_u32 v12, v7, v10
	v_mul_lo_u32 v10, v7, v10
	v_mul_hi_u32 v14, v7, v8
	v_add_co_u32_e32 v9, vcc, v9, v11
	v_addc_co_u32_e32 v11, vcc, 0, v13, vcc
	v_mul_lo_u32 v8, v7, v8
	v_add_co_u32_e32 v9, vcc, v9, v10
	v_addc_co_u32_e32 v9, vcc, v11, v12, vcc
	v_addc_co_u32_e32 v10, vcc, 0, v14, vcc
	v_add_co_u32_e32 v8, vcc, v9, v8
	v_addc_co_u32_e32 v9, vcc, 0, v10, vcc
	v_add_co_u32_e32 v4, vcc, v4, v8
	v_addc_co_u32_e32 v7, vcc, v7, v9, vcc
	v_mul_lo_u32 v8, s0, v7
	v_mul_hi_u32 v9, s0, v4
	v_mul_lo_u32 v10, s1, v4
	v_mul_lo_u32 v11, s0, v4
	v_add_u32_e32 v8, v9, v8
	v_add_u32_e32 v8, v8, v10
	v_mul_lo_u32 v12, v4, v8
	v_mul_hi_u32 v13, v4, v11
	v_mul_hi_u32 v14, v4, v8
	;; [unrolled: 1-line block ×3, first 2 shown]
	v_mul_lo_u32 v11, v7, v11
	v_mul_hi_u32 v9, v7, v8
	v_add_co_u32_e32 v12, vcc, v13, v12
	v_addc_co_u32_e32 v13, vcc, 0, v14, vcc
	v_mul_lo_u32 v8, v7, v8
	v_add_co_u32_e32 v11, vcc, v12, v11
	v_addc_co_u32_e32 v10, vcc, v13, v10, vcc
	v_addc_co_u32_e32 v9, vcc, 0, v9, vcc
	v_add_co_u32_e32 v8, vcc, v10, v8
	v_addc_co_u32_e32 v9, vcc, 0, v9, vcc
	v_add_co_u32_e32 v4, vcc, v4, v8
	v_addc_co_u32_e32 v9, vcc, v7, v9, vcc
	v_mad_u64_u32 v[7:8], s[0:1], v5, v9, 0
	v_mul_hi_u32 v10, v5, v4
	v_add_co_u32_e32 v11, vcc, v10, v7
	v_addc_co_u32_e32 v12, vcc, 0, v8, vcc
	v_mad_u64_u32 v[7:8], s[0:1], v6, v4, 0
	v_mad_u64_u32 v[9:10], s[0:1], v6, v9, 0
	v_add_co_u32_e32 v4, vcc, v11, v7
	v_addc_co_u32_e32 v4, vcc, v12, v8, vcc
	v_addc_co_u32_e32 v7, vcc, 0, v10, vcc
	v_add_co_u32_e32 v4, vcc, v4, v9
	v_addc_co_u32_e32 v9, vcc, 0, v7, vcc
	v_mul_lo_u32 v10, s19, v4
	v_mul_lo_u32 v11, s18, v9
	v_mad_u64_u32 v[7:8], s[0:1], s18, v4, 0
	v_add3_u32 v8, v8, v11, v10
	v_sub_u32_e32 v10, v6, v8
	v_mov_b32_e32 v11, s19
	v_sub_co_u32_e32 v7, vcc, v5, v7
	v_subb_co_u32_e64 v10, s[0:1], v10, v11, vcc
	v_subrev_co_u32_e64 v11, s[0:1], s18, v7
	v_subbrev_co_u32_e64 v10, s[0:1], 0, v10, s[0:1]
	v_cmp_le_u32_e64 s[0:1], s19, v10
	v_cndmask_b32_e64 v12, 0, -1, s[0:1]
	v_cmp_le_u32_e64 s[0:1], s18, v11
	v_cndmask_b32_e64 v11, 0, -1, s[0:1]
	v_cmp_eq_u32_e64 s[0:1], s19, v10
	v_cndmask_b32_e64 v10, v12, v11, s[0:1]
	v_add_co_u32_e64 v11, s[0:1], 2, v4
	v_addc_co_u32_e64 v12, s[0:1], 0, v9, s[0:1]
	v_add_co_u32_e64 v13, s[0:1], 1, v4
	v_addc_co_u32_e64 v14, s[0:1], 0, v9, s[0:1]
	v_subb_co_u32_e32 v8, vcc, v6, v8, vcc
	v_cmp_ne_u32_e64 s[0:1], 0, v10
	v_cmp_le_u32_e32 vcc, s19, v8
	v_cndmask_b32_e64 v10, v14, v12, s[0:1]
	v_cndmask_b32_e64 v12, 0, -1, vcc
	v_cmp_le_u32_e32 vcc, s18, v7
	v_cndmask_b32_e64 v7, 0, -1, vcc
	v_cmp_eq_u32_e32 vcc, s19, v8
	v_cndmask_b32_e32 v7, v12, v7, vcc
	v_cmp_ne_u32_e32 vcc, 0, v7
	v_cndmask_b32_e64 v7, v13, v11, s[0:1]
	v_cndmask_b32_e32 v8, v9, v10, vcc
	v_cndmask_b32_e32 v7, v4, v7, vcc
.LBB0_4:                                ;   in Loop: Header=BB0_2 Depth=1
	s_andn2_saveexec_b64 s[0:1], s[20:21]
	s_cbranch_execz .LBB0_6
; %bb.5:                                ;   in Loop: Header=BB0_2 Depth=1
	v_cvt_f32_u32_e32 v4, s18
	s_sub_i32 s20, 0, s18
	v_rcp_iflag_f32_e32 v4, v4
	v_mul_f32_e32 v4, 0x4f7ffffe, v4
	v_cvt_u32_f32_e32 v4, v4
	v_mul_lo_u32 v7, s20, v4
	v_mul_hi_u32 v7, v4, v7
	v_add_u32_e32 v4, v4, v7
	v_mul_hi_u32 v4, v5, v4
	v_mul_lo_u32 v7, v4, s18
	v_add_u32_e32 v8, 1, v4
	v_sub_u32_e32 v7, v5, v7
	v_subrev_u32_e32 v9, s18, v7
	v_cmp_le_u32_e32 vcc, s18, v7
	v_cndmask_b32_e32 v7, v7, v9, vcc
	v_cndmask_b32_e32 v4, v4, v8, vcc
	v_add_u32_e32 v8, 1, v4
	v_cmp_le_u32_e32 vcc, s18, v7
	v_cndmask_b32_e32 v7, v4, v8, vcc
	v_mov_b32_e32 v8, v3
.LBB0_6:                                ;   in Loop: Header=BB0_2 Depth=1
	s_or_b64 exec, exec, s[0:1]
	v_mul_lo_u32 v4, v8, s18
	v_mul_lo_u32 v11, v7, s19
	v_mad_u64_u32 v[9:10], s[0:1], v7, s18, 0
	s_load_dwordx2 s[0:1], s[6:7], 0x0
	s_add_u32 s16, s16, 1
	v_add3_u32 v4, v10, v11, v4
	v_sub_co_u32_e32 v5, vcc, v5, v9
	v_subb_co_u32_e32 v4, vcc, v6, v4, vcc
	s_waitcnt lgkmcnt(0)
	v_mul_lo_u32 v4, s0, v4
	v_mul_lo_u32 v6, s1, v5
	v_mad_u64_u32 v[1:2], s[0:1], s0, v5, v[1:2]
	s_addc_u32 s17, s17, 0
	s_add_u32 s6, s6, 8
	v_add3_u32 v2, v6, v2, v4
	v_mov_b32_e32 v4, s10
	v_mov_b32_e32 v5, s11
	s_addc_u32 s7, s7, 0
	v_cmp_ge_u64_e32 vcc, s[16:17], v[4:5]
	s_add_u32 s14, s14, 8
	s_addc_u32 s15, s15, 0
	s_cbranch_vccnz .LBB0_9
; %bb.7:                                ;   in Loop: Header=BB0_2 Depth=1
	v_mov_b32_e32 v5, v7
	v_mov_b32_e32 v6, v8
	s_branch .LBB0_2
.LBB0_8:
	v_mov_b32_e32 v8, v6
	v_mov_b32_e32 v7, v5
.LBB0_9:
	s_lshl_b64 s[0:1], s[10:11], 3
	s_add_u32 s0, s12, s0
	s_addc_u32 s1, s13, s1
	s_load_dwordx2 s[6:7], s[0:1], 0x0
	s_load_dwordx2 s[10:11], s[4:5], 0x20
                                        ; implicit-def: $vgpr6
                                        ; implicit-def: $vgpr9
                                        ; implicit-def: $vgpr10
                                        ; implicit-def: $vgpr12
                                        ; implicit-def: $vgpr13
                                        ; implicit-def: $vgpr14
                                        ; implicit-def: $vgpr11
                                        ; implicit-def: $vgpr15
                                        ; implicit-def: $vgpr17
                                        ; implicit-def: $vgpr21
                                        ; implicit-def: $vgpr29
                                        ; implicit-def: $vgpr22
                                        ; implicit-def: $vgpr28
                                        ; implicit-def: $vgpr32
                                        ; implicit-def: $vgpr27
                                        ; implicit-def: $vgpr40
                                        ; implicit-def: $vgpr25
                                        ; implicit-def: $vgpr41
                                        ; implicit-def: $vgpr24
                                        ; implicit-def: $vgpr42
                                        ; implicit-def: $vgpr20
                                        ; implicit-def: $vgpr43
                                        ; implicit-def: $vgpr23
                                        ; implicit-def: $vgpr44
                                        ; implicit-def: $vgpr26
	s_waitcnt lgkmcnt(0)
	v_mad_u64_u32 v[1:2], s[0:1], s6, v7, v[1:2]
	v_mul_lo_u32 v3, s6, v8
	v_mul_lo_u32 v4, s7, v7
	s_mov_b32 s0, 0x2828283
	v_mul_hi_u32 v5, v0, s0
	v_cmp_gt_u64_e32 vcc, s[10:11], v[7:8]
	v_add3_u32 v2, v4, v2, v3
	v_lshlrev_b64 v[18:19], 2, v[1:2]
	v_mul_u32_u24_e32 v3, 0x66, v5
	v_sub_u32_e32 v16, v0, v3
	v_mov_b32_e32 v0, 0
                                        ; implicit-def: $vgpr1
                                        ; implicit-def: $vgpr8
                                        ; implicit-def: $vgpr2
                                        ; implicit-def: $vgpr3
                                        ; implicit-def: $vgpr4
                                        ; implicit-def: $vgpr5
                                        ; implicit-def: $vgpr7
	s_and_saveexec_b64 s[4:5], vcc
	s_cbranch_execz .LBB0_11
; %bb.10:
	v_mov_b32_e32 v17, 0
	v_mov_b32_e32 v0, s3
	v_add_co_u32_e64 v2, s[0:1], s2, v18
	v_addc_co_u32_e64 v3, s[0:1], v0, v19, s[0:1]
	v_lshlrev_b64 v[0:1], 2, v[16:17]
	v_add_co_u32_e64 v8, s[0:1], v2, v0
	v_addc_co_u32_e64 v9, s[0:1], v3, v1, s[0:1]
	s_movk_i32 s0, 0x1000
	global_load_dword v1, v[8:9], off offset:408
	global_load_dword v2, v[8:9], off offset:816
	;; [unrolled: 1-line block ×7, first 2 shown]
	v_add_co_u32_e64 v12, s[0:1], s0, v8
	v_addc_co_u32_e64 v13, s[0:1], 0, v9, s[0:1]
	global_load_dword v17, v[8:9], off offset:3264
	global_load_dword v26, v[8:9], off offset:3672
	global_load_dword v23, v[8:9], off offset:4080
	global_load_dword v20, v[12:13], off offset:392
	global_load_dword v24, v[12:13], off offset:800
	global_load_dword v25, v[12:13], off offset:1208
	global_load_dword v27, v[12:13], off offset:1616
	global_load_dword v28, v[12:13], off offset:2024
	global_load_dword v29, v[12:13], off offset:2432
	global_load_dword v0, v[8:9], off
	s_waitcnt vmcnt(16)
	v_lshrrev_b32_e32 v6, 16, v1
	s_waitcnt vmcnt(15)
	v_lshrrev_b32_e32 v8, 16, v2
	;; [unrolled: 2-line block ×16, first 2 shown]
.LBB0_11:
	s_or_b64 exec, exec, s[4:5]
	s_mov_b32 s6, 0xb964b5c8
	v_sub_f16_e32 v31, v6, v21
	s_mov_b32 s15, 0x39e93b76
	v_add_f16_e32 v30, v1, v29
	v_pk_mul_f16 v37, v31, s6 op_sel_hi:[0,1]
	s_mov_b32 s10, 0xbbf7b964
	v_sub_f16_e32 v36, v8, v22
	v_pk_fma_f16 v33, v30, s15, v37 op_sel_hi:[0,1,1]
	s_mov_b32 s19, 0x2de839e9
	v_add_f16_e32 v38, v2, v28
	v_pk_mul_f16 v39, v36, s10 op_sel_hi:[0,1]
	s_mov_b32 s12, 0xba62bb29
	v_sub_f16_e32 v46, v9, v32
	s_waitcnt vmcnt(0)
	v_pk_add_f16 v33, v33, v0 op_sel_hi:[1,0]
	v_pk_fma_f16 v34, v38, s19, v39 op_sel_hi:[0,1,1]
	s_mov_b32 s24, 0xb8d23722
	v_add_f16_e32 v45, v3, v27
	v_pk_mul_f16 v47, v46, s12 op_sel_hi:[0,1]
	s_mov_b32 s16, 0xb1e1bbf7
	v_sub_f16_e32 v49, v10, v40
	v_pk_add_f16 v33, v34, v33
	v_pk_fma_f16 v34, v45, s24, v47 op_sel_hi:[0,1,1]
	s_mov_b32 s28, 0xbbdd2de8
	v_add_f16_e32 v48, v4, v25
	v_pk_mul_f16 v50, v49, s16 op_sel_hi:[0,1]
	s_mov_b32 s20, 0x3836bbb2
	v_sub_f16_e32 v52, v12, v41
	v_pk_add_f16 v33, v34, v33
	;; [unrolled: 7-line block ×4, first 2 shown]
	v_pk_fma_f16 v34, v54, s35, v56 op_sel_hi:[0,1,1]
	s_mov_b32 s37, 0x3722bacd
	v_add_f16_e32 v57, v11, v23
	v_pk_mul_f16 v59, v58, s29 op_sel_hi:[0,1]
	s_mov_b32 s30, 0xbbf7bb29
	v_pk_add_f16 v33, v34, v33
	v_pk_fma_f16 v34, v57, s37, v59 op_sel_hi:[0,1,1]
	s_mov_b32 s38, 0x2de83722
	v_pk_mul_f16 v60, v31, s30 op_sel_hi:[0,1]
	s_mov_b32 s26, 0xb1e1ba62
	v_pk_add_f16 v33, v34, v33
	v_pk_fma_f16 v34, v30, s38, v60 op_sel_hi:[0,1,1]
	s_mov_b32 s36, 0xbbddb8d2
	v_pk_mul_f16 v61, v36, s26 op_sel_hi:[0,1]
	s_mov_b32 s21, 0x3bb231e1
	v_pk_add_f16 v34, v34, v0 op_sel_hi:[1,0]
	v_pk_fma_f16 v35, v38, s36, v61 op_sel_hi:[0,1,1]
	s_mov_b32 s34, 0xb461bbdd
	v_pk_mul_f16 v62, v46, s21 op_sel_hi:[0,1]
	s_mov_b32 s17, 0x35c83bb2
	v_pk_add_f16 v34, v35, v34
	v_pk_fma_f16 v35, v45, s34, v62 op_sel_hi:[0,1,1]
	s_mov_b32 s31, 0x3b76b461
	v_pk_mul_f16 v63, v49, s17 op_sel_hi:[0,1]
	s_mov_b32 s13, 0xbb293964
	v_pk_add_f16 v34, v35, v34
	;; [unrolled: 5-line block ×4, first 2 shown]
	v_pk_fma_f16 v35, v54, s22, v65 op_sel_hi:[0,1,1]
	s_mov_b32 s18, 0xb8d22de8
	v_pk_mul_f16 v66, v58, s7 op_sel_hi:[0,1]
	s_mov_b32 s14, 0x3964b836
	v_sub_f16_e32 v68, v15, v44
	v_pk_add_f16 v34, v35, v34
	v_pk_fma_f16 v35, v57, s18, v66 op_sel_hi:[0,1,1]
	s_mov_b32 s39, 0x35c8b1e1
	s_mov_b32 s23, 0x39e9bacd
	v_add_f16_e32 v67, v17, v26
	v_pk_mul_f16 v70, v68, s14 op_sel_hi:[0,1]
	v_pk_add_f16 v34, v35, v34
	s_mov_b32 s40, 0x3b76bbdd
	v_pk_mul_f16 v69, v68, s39 op_sel_hi:[0,1]
	v_pk_fma_f16 v71, v67, s23, v70 op_sel_hi:[0,1,1]
	s_mov_b32 s53, 0xba62bbb2
	v_pk_fma_f16 v35, v67, s40, v69 op_sel_hi:[0,1,1]
	v_pk_add_f16 v34, v71, v34
	s_mov_b32 s0, 0xb8d2b461
	v_pk_mul_f16 v71, v31, s53 op_sel_hi:[0,1]
	s_mov_b32 s54, 0x3bb23836
	v_pk_add_f16 v33, v35, v33
	v_pk_fma_f16 v35, v30, s0, v71 op_sel_hi:[0,1,1]
	s_mov_b32 s1, 0xb461bacd
	v_pk_mul_f16 v72, v36, s54 op_sel_hi:[0,1]
	v_pk_add_f16 v35, v35, v0 op_sel_hi:[1,0]
	v_pk_fma_f16 v73, v38, s1, v72 op_sel_hi:[0,1,1]
	s_mov_b32 s55, 0xb5c83964
	v_pk_add_f16 v35, v73, v35
	s_mov_b32 s4, 0x3b7639e9
	v_pk_mul_f16 v73, v46, s55 op_sel_hi:[0,1]
	v_pk_fma_f16 v74, v45, s4, v73 op_sel_hi:[0,1,1]
	s_mov_b32 s56, 0xb836bb29
	v_pk_add_f16 v35, v74, v35
	s_mov_b32 s5, 0xbacd3722
	v_pk_mul_f16 v74, v49, s56 op_sel_hi:[0,1]
	;; [unrolled: 5-line block ×6, first 2 shown]
	s_mov_b32 s61, 0xb1e1b836
	v_pk_fma_f16 v79, v67, s44, v78 op_sel_hi:[0,1,1]
	s_mov_b32 s45, 0xbbddbacd
	v_pk_mul_f16 v31, v31, s61 op_sel_hi:[0,1]
	s_mov_b32 s62, 0x35c83b29
	v_pk_add_f16 v35, v79, v35
	v_pk_fma_f16 v79, v30, s45, v31 op_sel_hi:[0,1,1]
	s_mov_b32 s46, 0x3b763722
	v_pk_mul_f16 v80, v36, s62 op_sel_hi:[0,1]
	s_mov_b32 s63, 0xb836bbf7
	v_pk_add_f16 v79, v79, v0 op_sel_hi:[1,0]
	v_pk_fma_f16 v36, v38, s46, v80 op_sel_hi:[0,1,1]
	s_mov_b32 s47, 0xbacd2de8
	v_pk_mul_f16 v46, v46, s63 op_sel_hi:[0,1]
	s_mov_b32 s64, 0x39643a62
	v_pk_add_f16 v36, v36, v79
	v_pk_fma_f16 v79, v45, s47, v46 op_sel_hi:[0,1,1]
	s_mov_b32 s48, 0x39e9b8d2
	v_pk_mul_f16 v49, v49, s64 op_sel_hi:[0,1]
	s_mov_b32 s65, 0xba62b5c8
	v_pk_add_f16 v36, v79, v36
	v_pk_fma_f16 v79, v48, s48, v49 op_sel_hi:[0,1,1]
	s_mov_b32 s49, 0xb8d23b76
	v_pk_mul_f16 v52, v52, s65 op_sel_hi:[0,1]
	s_mov_b32 s66, 0x3b29b1e1
	v_pk_add_f16 v36, v79, v36
	v_pk_fma_f16 v79, v51, s49, v52 op_sel_hi:[0,1,1]
	s_mov_b32 s50, 0x3722bbdd
	v_pk_mul_f16 v55, v55, s66 op_sel_hi:[0,1]
	s_mov_b32 s67, 0xbbb23964
	v_pk_add_f16 v36, v79, v36
	v_pk_fma_f16 v79, v54, s50, v55 op_sel_hi:[0,1,1]
	s_mov_b32 s51, 0xb46139e9
	v_pk_mul_f16 v58, v58, s67 op_sel_hi:[0,1]
	s_mov_b32 s68, 0x3bf7bbb2
	v_pk_add_f16 v36, v79, v36
	v_pk_fma_f16 v79, v57, s51, v58 op_sel_hi:[0,1,1]
	s_mov_b32 s52, 0x2de8b461
	v_pk_mul_f16 v68, v68, s68 op_sel_hi:[0,1]
	v_pk_add_f16 v36, v79, v36
	v_pk_fma_f16 v79, v67, s52, v68 op_sel_hi:[0,1,1]
	v_pk_add_f16 v36, v79, v36
	v_mad_u32_u24 v79, v16, 34, 0
	v_pk_fma_f16 v31, v30, s45, v31 op_sel_hi:[0,1,1] neg_lo:[0,0,1] neg_hi:[0,0,1]
	ds_write_b128 v79, v[33:36] offset:2
	v_pk_add_f16 v31, v31, v0 op_sel_hi:[1,0]
	v_pk_fma_f16 v33, v38, s46, v80 op_sel_hi:[0,1,1] neg_lo:[0,0,1] neg_hi:[0,0,1]
	v_pk_add_f16 v31, v33, v31
	v_pk_fma_f16 v33, v45, s47, v46 op_sel_hi:[0,1,1] neg_lo:[0,0,1] neg_hi:[0,0,1]
	v_pk_add_f16 v31, v33, v31
	v_pk_fma_f16 v33, v48, s48, v49 op_sel_hi:[0,1,1] neg_lo:[0,0,1] neg_hi:[0,0,1]
	v_pk_add_f16 v31, v33, v31
	v_pk_fma_f16 v33, v51, s49, v52 op_sel_hi:[0,1,1] neg_lo:[0,0,1] neg_hi:[0,0,1]
	v_pk_add_f16 v31, v33, v31
	v_pk_fma_f16 v33, v54, s50, v55 op_sel_hi:[0,1,1] neg_lo:[0,0,1] neg_hi:[0,0,1]
	v_pk_add_f16 v31, v33, v31
	v_pk_fma_f16 v33, v57, s51, v58 op_sel_hi:[0,1,1] neg_lo:[0,0,1] neg_hi:[0,0,1]
	v_pk_add_f16 v31, v33, v31
	v_pk_fma_f16 v33, v67, s52, v68 op_sel_hi:[0,1,1] neg_lo:[0,0,1] neg_hi:[0,0,1]
	v_pk_add_f16 v31, v33, v31
	v_pk_fma_f16 v33, v30, s0, v71 op_sel_hi:[0,1,1] neg_lo:[0,0,1] neg_hi:[0,0,1]
	v_pk_add_f16 v33, v33, v0 op_sel_hi:[1,0]
	v_pk_fma_f16 v34, v38, s1, v72 op_sel_hi:[0,1,1] neg_lo:[0,0,1] neg_hi:[0,0,1]
	v_pk_add_f16 v33, v34, v33
	v_pk_fma_f16 v34, v45, s4, v73 op_sel_hi:[0,1,1] neg_lo:[0,0,1] neg_hi:[0,0,1]
	v_pk_add_f16 v33, v34, v33
	;; [unrolled: 2-line block ×7, first 2 shown]
	v_alignbit_b32 v33, v31, v31, 16
	v_pk_fma_f16 v31, v30, s38, v60 op_sel_hi:[0,1,1] neg_lo:[0,0,1] neg_hi:[0,0,1]
	v_pk_add_f16 v31, v31, v0 op_sel_hi:[1,0]
	v_pk_fma_f16 v35, v38, s36, v61 op_sel_hi:[0,1,1] neg_lo:[0,0,1] neg_hi:[0,0,1]
	v_pk_add_f16 v31, v35, v31
	v_pk_fma_f16 v35, v45, s34, v62 op_sel_hi:[0,1,1] neg_lo:[0,0,1] neg_hi:[0,0,1]
	v_pk_add_f16 v31, v35, v31
	;; [unrolled: 2-line block ×7, first 2 shown]
	v_pk_fma_f16 v30, v30, s15, v37 op_sel_hi:[0,1,1] neg_lo:[0,0,1] neg_hi:[0,0,1]
	v_alignbit_b32 v35, v31, v31, 16
	v_pk_fma_f16 v31, v38, s19, v39 op_sel_hi:[0,1,1] neg_lo:[0,0,1] neg_hi:[0,0,1]
	v_pk_add_f16 v30, v30, v0 op_sel_hi:[1,0]
	v_pk_add_f16 v30, v31, v30
	v_pk_fma_f16 v31, v45, s24, v47 op_sel_hi:[0,1,1] neg_lo:[0,0,1] neg_hi:[0,0,1]
	v_pk_add_f16 v30, v31, v30
	v_pk_fma_f16 v31, v48, s28, v50 op_sel_hi:[0,1,1] neg_lo:[0,0,1] neg_hi:[0,0,1]
	;; [unrolled: 2-line block ×6, first 2 shown]
	v_pk_add_f16 v30, v31, v30
	v_alignbit_b32 v34, v34, v34, 16
	v_alignbit_b32 v36, v30, v30, 16
	v_sub_f16_e32 v30, v1, v29
	ds_write_b128 v79, v[33:36] offset:18
	v_add_f16_e32 v49, v6, v21
	v_pk_mul_f16 v50, v30, s6 op_sel_hi:[0,1]
	v_sub_f16_e32 v33, v2, v28
	v_pk_fma_f16 v31, v49, s15, v50 op_sel_hi:[0,1,1] neg_lo:[0,0,1] neg_hi:[0,0,1]
	v_add_f16_e32 v51, v8, v22
	v_pk_mul_f16 v52, v33, s10 op_sel_hi:[0,1]
	v_pk_add_f16 v31, v31, v0 op_sel:[0,1]
	v_pk_fma_f16 v34, v51, s19, v52 op_sel_hi:[0,1,1] neg_lo:[0,0,1] neg_hi:[0,0,1]
	v_pk_add_f16 v31, v34, v31
	v_sub_f16_e32 v34, v3, v27
	v_add_f16_e32 v53, v9, v32
	v_pk_mul_f16 v54, v34, s12 op_sel_hi:[0,1]
	v_pk_fma_f16 v35, v53, s24, v54 op_sel_hi:[0,1,1] neg_lo:[0,0,1] neg_hi:[0,0,1]
	v_pk_add_f16 v31, v35, v31
	v_sub_f16_e32 v35, v4, v25
	v_add_f16_e32 v55, v10, v40
	v_pk_mul_f16 v56, v35, s16 op_sel_hi:[0,1]
	v_pk_fma_f16 v36, v55, s28, v56 op_sel_hi:[0,1,1] neg_lo:[0,0,1] neg_hi:[0,0,1]
	v_add_f16_e32 v1, v1, v0
	v_pk_add_f16 v31, v36, v31
	v_sub_f16_e32 v36, v5, v24
	v_add_f16_e32 v1, v2, v1
	v_add_f16_e32 v57, v12, v41
	v_pk_mul_f16 v58, v36, s20 op_sel_hi:[0,1]
	v_add_f16_e32 v1, v3, v1
	v_pk_fma_f16 v37, v57, s33, v58 op_sel_hi:[0,1,1] neg_lo:[0,0,1] neg_hi:[0,0,1]
	v_add_f16_e32 v1, v4, v1
	v_pk_add_f16 v31, v37, v31
	v_sub_f16_e32 v37, v7, v20
	v_add_f16_e32 v1, v5, v1
	v_add_f16_e32 v59, v13, v42
	v_pk_mul_f16 v60, v37, s25 op_sel_hi:[0,1]
	v_add_f16_e32 v1, v7, v1
	;; [unrolled: 8-line block ×3, first 2 shown]
	v_pk_fma_f16 v39, v61, s37, v62 op_sel_hi:[0,1,1] neg_lo:[0,0,1] neg_hi:[0,0,1]
	v_pk_mul_f16 v63, v30, s30 op_sel_hi:[0,1]
	v_add_f16_e32 v1, v23, v1
	v_pk_add_f16 v31, v39, v31
	v_pk_fma_f16 v39, v49, s38, v63 op_sel_hi:[0,1,1] neg_lo:[0,0,1] neg_hi:[0,0,1]
	v_pk_mul_f16 v64, v33, s26 op_sel_hi:[0,1]
	v_add_f16_e32 v1, v20, v1
	v_pk_add_f16 v39, v39, v0 op_sel:[0,1]
	v_pk_fma_f16 v45, v51, s36, v64 op_sel_hi:[0,1,1] neg_lo:[0,0,1] neg_hi:[0,0,1]
	v_pk_mul_f16 v65, v34, s21 op_sel_hi:[0,1]
	v_add_f16_e32 v1, v24, v1
	v_pk_add_f16 v39, v45, v39
	v_pk_fma_f16 v45, v53, s34, v65 op_sel_hi:[0,1,1] neg_lo:[0,0,1] neg_hi:[0,0,1]
	v_pk_mul_f16 v66, v35, s17 op_sel_hi:[0,1]
	v_add_f16_e32 v1, v25, v1
	v_pk_add_f16 v39, v45, v39
	;; [unrolled: 4-line block ×4, first 2 shown]
	v_pk_fma_f16 v45, v59, s22, v68 op_sel_hi:[0,1,1] neg_lo:[0,0,1] neg_hi:[0,0,1]
	v_pk_mul_f16 v69, v38, s7 op_sel_hi:[0,1]
	v_sub_f16_e32 v48, v17, v26
	v_add_f16_e32 v1, v29, v1
	v_pk_add_f16 v39, v45, v39
	v_pk_fma_f16 v45, v61, s18, v69 op_sel_hi:[0,1,1] neg_lo:[0,0,1] neg_hi:[0,0,1]
	v_add_f16_e32 v70, v15, v44
	v_pk_mul_f16 v71, v48, s39 op_sel_hi:[0,1]
	ds_write_b16 v79, v1
	v_lshlrev_b32_e32 v1, 5, v16
	v_pk_add_f16 v39, v45, v39
	v_pk_fma_f16 v45, v70, s40, v71 op_sel_hi:[0,1,1] neg_lo:[0,0,1] neg_hi:[0,0,1]
	v_pk_mul_f16 v72, v48, s14 op_sel_hi:[0,1]
	v_pk_mul_f16 v73, v30, s53 op_sel_hi:[0,1]
	v_sub_u32_e32 v17, v79, v1
	v_add_f16_sdwa v1, v6, v0 dst_sel:DWORD dst_unused:UNUSED_PAD src0_sel:DWORD src1_sel:WORD_1
	v_pk_fma_f16 v46, v70, s23, v72 op_sel_hi:[0,1,1] neg_lo:[0,0,1] neg_hi:[0,0,1]
	v_pk_add_f16 v45, v45, v31
	v_pk_fma_f16 v31, v49, s0, v73 op_sel_hi:[0,1,1] neg_lo:[0,0,1] neg_hi:[0,0,1]
	v_pk_mul_f16 v74, v33, s54 op_sel_hi:[0,1]
	v_add_f16_e32 v1, v8, v1
	v_pk_add_f16 v46, v46, v39
	v_pk_add_f16 v31, v31, v0 op_sel:[0,1]
	v_pk_fma_f16 v39, v51, s1, v74 op_sel_hi:[0,1,1] neg_lo:[0,0,1] neg_hi:[0,0,1]
	v_pk_mul_f16 v75, v34, s55 op_sel_hi:[0,1]
	v_add_f16_e32 v1, v9, v1
	v_pk_add_f16 v31, v39, v31
	v_pk_fma_f16 v39, v53, s4, v75 op_sel_hi:[0,1,1] neg_lo:[0,0,1] neg_hi:[0,0,1]
	v_pk_mul_f16 v76, v35, s56 op_sel_hi:[0,1]
	v_add_f16_e32 v1, v10, v1
	v_pk_add_f16 v31, v39, v31
	;; [unrolled: 4-line block ×5, first 2 shown]
	v_pk_fma_f16 v39, v61, s43, v80 op_sel_hi:[0,1,1] neg_lo:[0,0,1] neg_hi:[0,0,1]
	v_pk_mul_f16 v81, v48, s60 op_sel_hi:[0,1]
	v_pk_mul_f16 v82, v30, s61 op_sel_hi:[0,1]
	v_add_f16_e32 v1, v15, v1
	v_pk_add_f16 v31, v39, v31
	v_pk_fma_f16 v39, v70, s44, v81 op_sel_hi:[0,1,1] neg_lo:[0,0,1] neg_hi:[0,0,1]
	v_pk_fma_f16 v30, v49, s45, v82 op_sel_hi:[0,1,1] neg_lo:[0,0,1] neg_hi:[0,0,1]
	v_pk_mul_f16 v83, v33, s62 op_sel_hi:[0,1]
	v_add_f16_e32 v1, v44, v1
	v_pk_add_f16 v47, v39, v31
	v_pk_add_f16 v30, v30, v0 op_sel:[0,1]
	v_pk_fma_f16 v31, v51, s46, v83 op_sel_hi:[0,1,1] neg_lo:[0,0,1] neg_hi:[0,0,1]
	v_pk_mul_f16 v84, v34, s63 op_sel_hi:[0,1]
	v_add_f16_e32 v1, v43, v1
	v_pk_add_f16 v30, v31, v30
	v_pk_fma_f16 v31, v53, s47, v84 op_sel_hi:[0,1,1] neg_lo:[0,0,1] neg_hi:[0,0,1]
	v_pk_mul_f16 v85, v35, s64 op_sel_hi:[0,1]
	v_add_f16_e32 v1, v42, v1
	v_pk_add_f16 v30, v31, v30
	v_pk_fma_f16 v31, v55, s48, v85 op_sel_hi:[0,1,1] neg_lo:[0,0,1] neg_hi:[0,0,1]
	v_pk_mul_f16 v86, v36, s65 op_sel_hi:[0,1]
	v_add_f16_e32 v1, v41, v1
	v_pk_add_f16 v30, v31, v30
	v_pk_fma_f16 v31, v57, s49, v86 op_sel_hi:[0,1,1] neg_lo:[0,0,1] neg_hi:[0,0,1]
	v_pk_mul_f16 v87, v37, s66 op_sel_hi:[0,1]
	v_add_f16_e32 v1, v40, v1
	v_pk_add_f16 v30, v31, v30
	v_pk_fma_f16 v31, v59, s50, v87 op_sel_hi:[0,1,1] neg_lo:[0,0,1] neg_hi:[0,0,1]
	v_pk_mul_f16 v88, v38, s67 op_sel_hi:[0,1]
	v_add_f16_e32 v1, v32, v1
	v_pk_add_f16 v30, v31, v30
	v_pk_fma_f16 v31, v61, s51, v88 op_sel_hi:[0,1,1] neg_lo:[0,0,1] neg_hi:[0,0,1]
	v_pk_mul_f16 v89, v48, s68 op_sel_hi:[0,1]
	v_add_f16_e32 v1, v22, v1
	v_pk_add_f16 v30, v31, v30
	v_pk_fma_f16 v31, v70, s52, v89 op_sel_hi:[0,1,1] neg_lo:[0,0,1] neg_hi:[0,0,1]
	v_add_f16_e32 v1, v21, v1
	v_pk_add_f16 v48, v31, v30
	s_waitcnt lgkmcnt(0)
	s_barrier
	ds_read_u16 v20, v17
	ds_read_u16 v39, v17 offset:204
	ds_read_u16 v38, v17 offset:408
	;; [unrolled: 1-line block ×16, first 2 shown]
	s_waitcnt lgkmcnt(0)
	s_barrier
	ds_write_b16 v79, v1
	v_pk_fma_f16 v1, v49, s45, v82 op_sel_hi:[0,1,1]
	v_pk_add_f16 v1, v1, v0 op_sel:[0,1]
	v_pk_fma_f16 v2, v51, s46, v83 op_sel_hi:[0,1,1]
	v_pk_add_f16 v1, v2, v1
	v_pk_fma_f16 v2, v53, s47, v84 op_sel_hi:[0,1,1]
	v_pk_add_f16 v1, v2, v1
	v_pk_fma_f16 v2, v55, s48, v85 op_sel_hi:[0,1,1]
	v_pk_add_f16 v1, v2, v1
	v_pk_fma_f16 v2, v57, s49, v86 op_sel_hi:[0,1,1]
	v_pk_add_f16 v1, v2, v1
	v_pk_fma_f16 v2, v59, s50, v87 op_sel_hi:[0,1,1]
	v_pk_add_f16 v1, v2, v1
	v_pk_fma_f16 v2, v61, s51, v88 op_sel_hi:[0,1,1]
	v_pk_add_f16 v1, v2, v1
	v_pk_fma_f16 v2, v70, s52, v89 op_sel_hi:[0,1,1]
	v_pk_add_f16 v1, v2, v1
	v_pk_fma_f16 v2, v49, s0, v73 op_sel_hi:[0,1,1]
	v_pk_add_f16 v2, v2, v0 op_sel:[0,1]
	v_pk_fma_f16 v3, v51, s1, v74 op_sel_hi:[0,1,1]
	v_pk_add_f16 v2, v3, v2
	v_pk_fma_f16 v3, v53, s4, v75 op_sel_hi:[0,1,1]
	v_pk_add_f16 v2, v3, v2
	v_pk_fma_f16 v3, v55, s5, v76 op_sel_hi:[0,1,1]
	v_pk_add_f16 v2, v3, v2
	v_pk_fma_f16 v3, v57, s41, v77 op_sel_hi:[0,1,1]
	v_pk_add_f16 v2, v3, v2
	v_pk_fma_f16 v3, v59, s42, v78 op_sel_hi:[0,1,1]
	v_pk_add_f16 v2, v3, v2
	v_pk_fma_f16 v3, v61, s43, v80 op_sel_hi:[0,1,1]
	v_pk_add_f16 v2, v3, v2
	v_pk_fma_f16 v3, v70, s44, v81 op_sel_hi:[0,1,1]
	v_pk_add_f16 v2, v3, v2
	;; [unrolled: 16-line block ×4, first 2 shown]
	s_movk_i32 s0, 0xf1
	v_alignbit_b32 v4, v0, v0, 16
	v_mul_lo_u16_sdwa v0, v16, s0 dst_sel:DWORD dst_unused:UNUSED_PAD src0_sel:BYTE_0 src1_sel:DWORD
	v_lshrrev_b16_e32 v21, 12, v0
	v_mul_lo_u16_e32 v0, 17, v21
	v_sub_u16_e32 v22, v16, v0
	v_mov_b32_e32 v0, 6
	v_alignbit_b32 v1, v1, v1, 16
	v_alignbit_b32 v2, v2, v2, 16
	;; [unrolled: 1-line block ×3, first 2 shown]
	v_lshlrev_b32_sdwa v32, v0, v22 dst_sel:DWORD dst_unused:UNUSED_PAD src0_sel:DWORD src1_sel:BYTE_0
	ds_write_b128 v79, v[45:48] offset:2
	ds_write_b128 v79, v[1:4] offset:18
	s_waitcnt lgkmcnt(0)
	s_barrier
	global_load_dwordx4 v[4:7], v32, s[8:9]
	global_load_dwordx4 v[0:3], v32, s[8:9] offset:16
	global_load_dwordx4 v[8:11], v32, s[8:9] offset:32
	;; [unrolled: 1-line block ×3, first 2 shown]
	ds_read_u16 v40, v17 offset:204
	ds_read_u16 v41, v17 offset:408
	;; [unrolled: 1-line block ×7, first 2 shown]
	ds_read_u16 v32, v17
	s_mov_b32 s0, 0xb461
	s_mov_b32 s41, 0xbacd
	;; [unrolled: 1-line block ×3, first 2 shown]
	s_movk_i32 s4, 0x3722
	s_mov_b32 s42, 0xbbdd
	s_movk_i32 s43, 0x3b76
	s_movk_i32 s44, 0x39e9
	s_movk_i32 s5, 0x2de8
	s_mov_b32 s54, 0xb836
	s_mov_b32 s49, 0xb1e1
	s_movk_i32 s55, 0x3836
	s_movk_i32 s45, 0x3b29
	;; [unrolled: 1-line block ×4, first 2 shown]
	s_mov_b32 s52, 0xb5c8
	s_mov_b32 s46, 0xbb29
	s_movk_i32 s47, 0x3a62
	s_movk_i32 s48, 0x3bf7
	s_mov_b32 s53, 0xb964
	s_waitcnt vmcnt(3) lgkmcnt(7)
	v_mul_f16_sdwa v44, v40, v4 dst_sel:DWORD dst_unused:UNUSED_PAD src0_sel:DWORD src1_sel:WORD_1
	v_fma_f16 v50, v39, v4, v44
	v_mul_f16_sdwa v39, v39, v4 dst_sel:DWORD dst_unused:UNUSED_PAD src0_sel:DWORD src1_sel:WORD_1
	v_fma_f16 v51, v40, v4, -v39
	s_waitcnt lgkmcnt(6)
	v_mul_f16_sdwa v4, v41, v5 dst_sel:DWORD dst_unused:UNUSED_PAD src0_sel:DWORD src1_sel:WORD_1
	v_fma_f16 v47, v38, v5, v4
	v_mul_f16_sdwa v4, v38, v5 dst_sel:DWORD dst_unused:UNUSED_PAD src0_sel:DWORD src1_sel:WORD_1
	v_fma_f16 v48, v41, v5, -v4
	s_waitcnt lgkmcnt(5)
	;; [unrolled: 5-line block ×3, first 2 shown]
	v_mul_f16_sdwa v4, v43, v7 dst_sel:DWORD dst_unused:UNUSED_PAD src0_sel:DWORD src1_sel:WORD_1
	v_fma_f16 v42, v36, v7, v4
	v_mul_f16_sdwa v4, v36, v7 dst_sel:DWORD dst_unused:UNUSED_PAD src0_sel:DWORD src1_sel:WORD_1
	v_fma_f16 v43, v43, v7, -v4
	s_waitcnt vmcnt(2) lgkmcnt(3)
	v_mul_f16_sdwa v4, v45, v0 dst_sel:DWORD dst_unused:UNUSED_PAD src0_sel:DWORD src1_sel:WORD_1
	v_fma_f16 v40, v35, v0, v4
	v_mul_f16_sdwa v4, v35, v0 dst_sel:DWORD dst_unused:UNUSED_PAD src0_sel:DWORD src1_sel:WORD_1
	v_fma_f16 v41, v45, v0, -v4
	s_waitcnt lgkmcnt(2)
	v_mul_f16_sdwa v0, v49, v1 dst_sel:DWORD dst_unused:UNUSED_PAD src0_sel:DWORD src1_sel:WORD_1
	v_fma_f16 v37, v34, v1, v0
	v_mul_f16_sdwa v0, v34, v1 dst_sel:DWORD dst_unused:UNUSED_PAD src0_sel:DWORD src1_sel:WORD_1
	v_fma_f16 v39, v49, v1, -v0
	s_waitcnt lgkmcnt(1)
	v_mul_f16_sdwa v0, v52, v2 dst_sel:DWORD dst_unused:UNUSED_PAD src0_sel:DWORD src1_sel:WORD_1
	v_fma_f16 v35, v33, v2, v0
	v_mul_f16_sdwa v0, v33, v2 dst_sel:DWORD dst_unused:UNUSED_PAD src0_sel:DWORD src1_sel:WORD_1
	v_fma_f16 v36, v52, v2, -v0
	ds_read_u16 v0, v17 offset:1632
	ds_read_u16 v1, v17 offset:1836
	;; [unrolled: 1-line block ×8, first 2 shown]
	s_waitcnt lgkmcnt(7)
	v_mul_f16_sdwa v33, v0, v3 dst_sel:DWORD dst_unused:UNUSED_PAD src0_sel:DWORD src1_sel:WORD_1
	v_fma_f16 v33, v31, v3, v33
	v_mul_f16_sdwa v31, v31, v3 dst_sel:DWORD dst_unused:UNUSED_PAD src0_sel:DWORD src1_sel:WORD_1
	v_fma_f16 v31, v0, v3, -v31
	s_waitcnt vmcnt(1) lgkmcnt(6)
	v_mul_f16_sdwa v0, v1, v8 dst_sel:DWORD dst_unused:UNUSED_PAD src0_sel:DWORD src1_sel:WORD_1
	v_fma_f16 v34, v30, v8, v0
	v_mul_f16_sdwa v0, v30, v8 dst_sel:DWORD dst_unused:UNUSED_PAD src0_sel:DWORD src1_sel:WORD_1
	v_fma_f16 v30, v1, v8, -v0
	s_waitcnt lgkmcnt(5)
	v_mul_f16_sdwa v0, v2, v9 dst_sel:DWORD dst_unused:UNUSED_PAD src0_sel:DWORD src1_sel:WORD_1
	v_fma_f16 v38, v29, v9, v0
	v_mul_f16_sdwa v0, v29, v9 dst_sel:DWORD dst_unused:UNUSED_PAD src0_sel:DWORD src1_sel:WORD_1
	v_fma_f16 v9, v2, v9, -v0
	s_waitcnt lgkmcnt(4)
	;; [unrolled: 5-line block ×3, first 2 shown]
	v_mul_f16_sdwa v0, v5, v11 dst_sel:DWORD dst_unused:UNUSED_PAD src0_sel:DWORD src1_sel:WORD_1
	v_fma_f16 v45, v27, v11, v0
	v_mul_f16_sdwa v0, v27, v11 dst_sel:DWORD dst_unused:UNUSED_PAD src0_sel:DWORD src1_sel:WORD_1
	v_fma_f16 v27, v5, v11, -v0
	s_waitcnt vmcnt(0) lgkmcnt(2)
	v_mul_f16_sdwa v0, v6, v12 dst_sel:DWORD dst_unused:UNUSED_PAD src0_sel:DWORD src1_sel:WORD_1
	v_fma_f16 v49, v26, v12, v0
	v_mul_f16_sdwa v0, v26, v12 dst_sel:DWORD dst_unused:UNUSED_PAD src0_sel:DWORD src1_sel:WORD_1
	v_fma_f16 v26, v6, v12, -v0
	s_waitcnt lgkmcnt(1)
	v_mul_f16_sdwa v0, v7, v13 dst_sel:DWORD dst_unused:UNUSED_PAD src0_sel:DWORD src1_sel:WORD_1
	v_fma_f16 v52, v25, v13, v0
	v_mul_f16_sdwa v0, v25, v13 dst_sel:DWORD dst_unused:UNUSED_PAD src0_sel:DWORD src1_sel:WORD_1
	v_fma_f16 v25, v7, v13, -v0
	ds_read_u16 v0, v17 offset:3264
	s_waitcnt lgkmcnt(1)
	v_mul_f16_sdwa v1, v54, v14 dst_sel:DWORD dst_unused:UNUSED_PAD src0_sel:DWORD src1_sel:WORD_1
	v_fma_f16 v53, v24, v14, v1
	v_mul_f16_sdwa v1, v24, v14 dst_sel:DWORD dst_unused:UNUSED_PAD src0_sel:DWORD src1_sel:WORD_1
	v_fma_f16 v24, v54, v14, -v1
	s_waitcnt lgkmcnt(0)
	v_mul_f16_sdwa v1, v0, v15 dst_sel:DWORD dst_unused:UNUSED_PAD src0_sel:DWORD src1_sel:WORD_1
	v_fma_f16 v55, v23, v15, v1
	v_mul_f16_sdwa v1, v23, v15 dst_sel:DWORD dst_unused:UNUSED_PAD src0_sel:DWORD src1_sel:WORD_1
	v_fma_f16 v23, v0, v15, -v1
	v_sub_f16_e32 v1, v51, v23
	v_add_f16_e32 v0, v50, v55
	v_mul_f16_e32 v2, 0xbbb2, v1
	v_sub_f16_e32 v5, v48, v24
	v_fma_f16 v3, v0, s0, v2
	v_add_f16_e32 v4, v47, v53
	v_mul_f16_e32 v6, 0x3836, v5
	v_fma_f16 v2, v0, s0, -v2
	v_fma_f16 v7, v4, s41, v6
	v_add_f16_e32 v2, v20, v2
	v_fma_f16 v6, v4, s41, -v6
	v_add_f16_e32 v3, v20, v3
	v_add_f16_e32 v2, v6, v2
	v_mul_f16_e32 v6, 0xba62, v1
	v_add_f16_e32 v3, v7, v3
	v_fma_f16 v7, v0, s1, v6
	v_mul_f16_e32 v8, 0x3bb2, v5
	v_fma_f16 v6, v0, s1, -v6
	v_fma_f16 v10, v4, s0, v8
	v_add_f16_e32 v6, v20, v6
	v_fma_f16 v8, v4, s0, -v8
	v_add_f16_e32 v7, v20, v7
	v_add_f16_e32 v6, v8, v6
	v_mul_f16_e32 v8, 0xb836, v1
	v_add_f16_e32 v7, v10, v7
	v_fma_f16 v10, v0, s41, v8
	v_mul_f16_e32 v11, 0x3b29, v5
	v_fma_f16 v8, v0, s41, -v8
	v_fma_f16 v12, v4, s4, v11
	v_add_f16_e32 v8, v20, v8
	v_fma_f16 v11, v4, s4, -v11
	v_add_f16_e32 v10, v20, v10
	v_add_f16_e32 v8, v11, v8
	v_mul_f16_e32 v11, 0xb1e1, v1
	v_add_f16_e32 v10, v12, v10
	v_fma_f16 v12, v0, s42, v11
	v_mul_f16_e32 v13, 0x35c8, v5
	v_add_f16_e32 v12, v20, v12
	v_fma_f16 v14, v4, s43, v13
	v_fma_f16 v11, v0, s42, -v11
	v_add_f16_e32 v12, v14, v12
	v_add_f16_e32 v11, v20, v11
	v_fma_f16 v13, v4, s43, -v13
	v_sub_f16_e32 v14, v46, v25
	v_add_f16_e32 v11, v13, v11
	v_add_f16_e32 v13, v44, v52
	v_mul_f16_e32 v15, 0x3964, v14
	v_fma_f16 v54, v13, s44, v15
	v_fma_f16 v15, v13, s44, -v15
	v_add_f16_e32 v2, v15, v2
	v_mul_f16_e32 v15, 0xb5c8, v14
	v_add_f16_e32 v3, v54, v3
	v_fma_f16 v54, v13, s43, v15
	v_fma_f16 v15, v13, s43, -v15
	v_add_f16_e32 v6, v15, v6
	v_mul_f16_e32 v15, 0xbbf7, v14
	v_add_f16_e32 v7, v54, v7
	v_fma_f16 v54, v13, s5, v15
	v_fma_f16 v15, v13, s5, -v15
	v_add_f16_e32 v8, v15, v8
	v_mul_f16_e32 v15, 0xb836, v14
	v_add_f16_e32 v10, v54, v10
	v_fma_f16 v54, v13, s41, v15
	v_add_f16_e32 v12, v54, v12
	v_fma_f16 v15, v13, s41, -v15
	v_sub_f16_e32 v54, v43, v26
	v_add_f16_e32 v11, v15, v11
	v_add_f16_e32 v15, v42, v49
	v_mul_f16_e32 v56, 0xbb29, v54
	v_fma_f16 v57, v15, s4, v56
	v_fma_f16 v56, v15, s4, -v56
	v_add_f16_e32 v2, v56, v2
	v_mul_f16_e32 v56, 0xb836, v54
	v_add_f16_e32 v3, v57, v3
	v_fma_f16 v57, v15, s41, v56
	v_fma_f16 v56, v15, s41, -v56
	v_add_f16_e32 v6, v56, v6
	v_mul_f16_e32 v56, 0x3a62, v54
	v_add_f16_e32 v7, v57, v7
	v_fma_f16 v57, v15, s1, v56
	v_fma_f16 v56, v15, s1, -v56
	v_add_f16_e32 v8, v56, v8
	v_mul_f16_e32 v56, 0x3964, v54
	v_add_f16_e32 v10, v57, v10
	v_fma_f16 v57, v15, s44, v56
	;; [unrolled: 22-line block ×5, first 2 shown]
	v_fma_f16 v2, v60, s0, -v2
	v_add_f16_e32 v11, v2, v11
	v_pk_mul_f16 v2, v1, s6 op_sel_hi:[0,1]
	v_add_f16_e32 v12, v63, v12
	v_pk_fma_f16 v63, v0, s15, v2 op_sel_hi:[0,1,1]
	v_pk_mul_f16 v65, v5, s10 op_sel_hi:[0,1]
	v_pk_fma_f16 v2, v0, s15, v2 op_sel_hi:[0,1,1] neg_lo:[0,0,1] neg_hi:[0,0,1]
	v_pk_fma_f16 v66, v4, s19, v65 op_sel_hi:[0,1,1]
	v_pk_add_f16 v2, v20, v2 op_sel_hi:[0,1]
	v_pk_fma_f16 v65, v4, s19, v65 op_sel_hi:[0,1,1] neg_lo:[0,0,1] neg_hi:[0,0,1]
	v_add_f16_e32 v64, v20, v63
	v_add_f16_sdwa v63, v20, v63 dst_sel:DWORD dst_unused:UNUSED_PAD src0_sel:DWORD src1_sel:WORD_1
	v_pk_add_f16 v2, v65, v2
	v_pk_mul_f16 v65, v14, s12 op_sel_hi:[0,1]
	v_add_f16_e32 v64, v66, v64
	v_add_f16_sdwa v63, v66, v63 dst_sel:DWORD dst_unused:UNUSED_PAD src0_sel:WORD_1 src1_sel:DWORD
	v_pk_fma_f16 v66, v13, s24, v65 op_sel_hi:[0,1,1]
	v_pk_fma_f16 v65, v13, s24, v65 op_sel_hi:[0,1,1] neg_lo:[0,0,1] neg_hi:[0,0,1]
	v_pk_add_f16 v2, v65, v2
	v_pk_mul_f16 v65, v54, s16 op_sel_hi:[0,1]
	v_add_f16_e32 v64, v66, v64
	v_add_f16_sdwa v63, v66, v63 dst_sel:DWORD dst_unused:UNUSED_PAD src0_sel:WORD_1 src1_sel:DWORD
	v_pk_fma_f16 v66, v15, s28, v65 op_sel_hi:[0,1,1]
	v_pk_fma_f16 v65, v15, s28, v65 op_sel_hi:[0,1,1] neg_lo:[0,0,1] neg_hi:[0,0,1]
	;; [unrolled: 6-line block ×4, first 2 shown]
	v_pk_add_f16 v2, v65, v2
	v_pk_mul_f16 v65, v61, s29 op_sel_hi:[0,1]
	v_add_f16_e32 v64, v66, v64
	v_add_f16_sdwa v63, v66, v63 dst_sel:DWORD dst_unused:UNUSED_PAD src0_sel:WORD_1 src1_sel:DWORD
	v_pk_fma_f16 v66, v60, s37, v65 op_sel_hi:[0,1,1]
	v_add_f16_e32 v64, v66, v64
	v_add_f16_sdwa v63, v66, v63 dst_sel:DWORD dst_unused:UNUSED_PAD src0_sel:WORD_1 src1_sel:DWORD
	v_pk_fma_f16 v65, v60, s37, v65 op_sel_hi:[0,1,1] neg_lo:[0,0,1] neg_hi:[0,0,1]
	v_sub_f16_e32 v66, v31, v30
	v_pk_add_f16 v2, v65, v2
	v_add_f16_e32 v65, v33, v34
	v_pk_mul_f16 v67, v66, s39 op_sel_hi:[0,1]
	v_pk_fma_f16 v68, v65, s40, v67 op_sel_hi:[0,1,1]
	v_pk_fma_f16 v67, v65, s40, v67 op_sel_hi:[0,1,1] neg_lo:[0,0,1] neg_hi:[0,0,1]
	v_pk_mul_f16 v1, v1, s30 op_sel_hi:[0,1]
	v_pk_add_f16 v2, v67, v2
	v_pk_fma_f16 v67, v0, s38, v1 op_sel_hi:[0,1,1]
	v_pk_fma_f16 v0, v0, s38, v1 op_sel_hi:[0,1,1] neg_lo:[0,0,1] neg_hi:[0,0,1]
	v_pk_mul_f16 v5, v5, s26 op_sel_hi:[0,1]
	v_add_f16_e32 v64, v68, v64
	v_add_f16_sdwa v63, v68, v63 dst_sel:DWORD dst_unused:UNUSED_PAD src0_sel:WORD_1 src1_sel:DWORD
	v_pk_fma_f16 v68, v4, s36, v5 op_sel_hi:[0,1,1]
	v_pk_fma_f16 v4, v4, s36, v5 op_sel_hi:[0,1,1] neg_lo:[0,0,1] neg_hi:[0,0,1]
	v_pk_add_f16 v0, v20, v0 op_sel_hi:[0,1]
	v_pk_add_f16 v0, v4, v0
	v_pk_mul_f16 v4, v14, s21 op_sel_hi:[0,1]
	v_pk_fma_f16 v5, v13, s34, v4 op_sel_hi:[0,1,1]
	v_pk_fma_f16 v4, v13, s34, v4 op_sel_hi:[0,1,1] neg_lo:[0,0,1] neg_hi:[0,0,1]
	v_add_f16_e32 v1, v20, v67
	v_add_f16_sdwa v67, v20, v67 dst_sel:DWORD dst_unused:UNUSED_PAD src0_sel:DWORD src1_sel:WORD_1
	v_pk_add_f16 v0, v4, v0
	v_pk_mul_f16 v4, v54, s17 op_sel_hi:[0,1]
	v_add_f16_e32 v1, v68, v1
	v_add_f16_sdwa v67, v68, v67 dst_sel:DWORD dst_unused:UNUSED_PAD src0_sel:WORD_1 src1_sel:DWORD
	v_pk_fma_f16 v13, v15, s31, v4 op_sel_hi:[0,1,1]
	v_pk_fma_f16 v4, v15, s31, v4 op_sel_hi:[0,1,1] neg_lo:[0,0,1] neg_hi:[0,0,1]
	v_add_f16_e32 v1, v5, v1
	v_add_f16_sdwa v5, v5, v67 dst_sel:DWORD dst_unused:UNUSED_PAD src0_sel:WORD_1 src1_sel:DWORD
	v_pk_add_f16 v0, v4, v0
	v_pk_mul_f16 v4, v57, s13 op_sel_hi:[0,1]
	v_add_f16_e32 v1, v13, v1
	v_add_f16_sdwa v5, v13, v5 dst_sel:DWORD dst_unused:UNUSED_PAD src0_sel:WORD_1 src1_sel:DWORD
	v_pk_fma_f16 v13, v56, s27, v4 op_sel_hi:[0,1,1]
	v_pk_fma_f16 v4, v56, s27, v4 op_sel_hi:[0,1,1] neg_lo:[0,0,1] neg_hi:[0,0,1]
	v_pk_add_f16 v0, v4, v0
	v_pk_mul_f16 v4, v59, s11 op_sel_hi:[0,1]
	v_add_f16_e32 v1, v13, v1
	v_add_f16_sdwa v5, v13, v5 dst_sel:DWORD dst_unused:UNUSED_PAD src0_sel:WORD_1 src1_sel:DWORD
	v_pk_fma_f16 v13, v58, s22, v4 op_sel_hi:[0,1,1]
	v_pk_fma_f16 v4, v58, s22, v4 op_sel_hi:[0,1,1] neg_lo:[0,0,1] neg_hi:[0,0,1]
	v_pk_add_f16 v0, v4, v0
	v_pk_mul_f16 v4, v61, s7 op_sel_hi:[0,1]
	v_add_f16_e32 v1, v13, v1
	v_add_f16_sdwa v5, v13, v5 dst_sel:DWORD dst_unused:UNUSED_PAD src0_sel:WORD_1 src1_sel:DWORD
	v_pk_fma_f16 v13, v60, s18, v4 op_sel_hi:[0,1,1]
	v_pk_fma_f16 v4, v60, s18, v4 op_sel_hi:[0,1,1] neg_lo:[0,0,1] neg_hi:[0,0,1]
	v_pk_add_f16 v0, v4, v0
	v_pk_mul_f16 v4, v66, s14 op_sel_hi:[0,1]
	v_add_f16_e32 v1, v13, v1
	v_add_f16_sdwa v5, v13, v5 dst_sel:DWORD dst_unused:UNUSED_PAD src0_sel:WORD_1 src1_sel:DWORD
	v_pk_fma_f16 v13, v65, s23, v4 op_sel_hi:[0,1,1]
	v_pk_fma_f16 v4, v65, s23, v4 op_sel_hi:[0,1,1] neg_lo:[0,0,1] neg_hi:[0,0,1]
	v_pk_add_f16 v4, v4, v0
	v_mul_f16_e32 v0, 0xba62, v66
	v_add_f16_e32 v1, v13, v1
	v_add_f16_sdwa v5, v13, v5 dst_sel:DWORD dst_unused:UNUSED_PAD src0_sel:WORD_1 src1_sel:DWORD
	v_fma_f16 v13, v65, s1, v0
	v_fma_f16 v0, v65, s1, -v0
	v_add_f16_e32 v13, v13, v3
	v_add_f16_e32 v3, v0, v62
	v_mul_f16_e32 v0, 0x3b29, v66
	v_fma_f16 v14, v65, s4, v0
	v_fma_f16 v0, v65, s4, -v0
	v_add_f16_e32 v0, v0, v6
	v_mul_f16_e32 v6, 0xbbb2, v66
	v_add_f16_e32 v7, v14, v7
	v_fma_f16 v14, v65, s0, v6
	v_fma_f16 v6, v65, s0, -v6
	v_add_f16_e32 v6, v6, v8
	v_mul_f16_e32 v8, 0x3bf7, v66
	v_add_f16_e32 v10, v14, v10
	v_fma_f16 v14, v65, s5, v8
	v_fma_f16 v8, v65, s5, -v8
	v_add_f16_e32 v8, v8, v11
	v_mov_b32_e32 v11, 1
	v_add_f16_e32 v12, v14, v12
	v_lshlrev_b32_sdwa v11, v11, v22 dst_sel:DWORD dst_unused:UNUSED_PAD src0_sel:DWORD src1_sel:BYTE_0
	v_mul_u32_u24_e32 v14, 0x242, v21
	v_add3_u32 v54, 0, v14, v11
	v_add_f16_e32 v11, v20, v50
	v_add_f16_e32 v11, v11, v47
	;; [unrolled: 1-line block ×16, first 2 shown]
	s_barrier
	ds_write_b16 v54, v11
	ds_write_b16 v54, v64 offset:34
	ds_write_b16 v54, v63 offset:68
	;; [unrolled: 1-line block ×12, first 2 shown]
	ds_write_b16_d16_hi v54, v4 offset:442
	ds_write_b16 v54, v4 offset:476
	ds_write_b16_d16_hi v54, v2 offset:510
	ds_write_b16 v54, v2 offset:544
	s_waitcnt lgkmcnt(0)
	s_barrier
	ds_read_u16 v0, v17
	ds_read_u16 v8, v17 offset:2312
	ds_read_u16 v11, v17 offset:1938
	;; [unrolled: 1-line block ×11, first 2 shown]
	s_movk_i32 s0, 0x55
	s_mov_b32 s41, 0xbbb2
	s_mov_b32 s44, 0xba62
	s_movk_i32 s42, 0x3bb2
	s_mov_b32 s43, 0xbbf7
	v_cmp_gt_u32_e64 s[0:1], s0, v16
                                        ; implicit-def: $vgpr5
	s_and_saveexec_b64 s[4:5], s[0:1]
	s_cbranch_execz .LBB0_13
; %bb.12:
	ds_read_u16 v2, v17 offset:2142
	ds_read_u16 v4, v17 offset:2720
	;; [unrolled: 1-line block ×6, first 2 shown]
	s_mov_b32 s56, 0x5040100
	s_waitcnt lgkmcnt(4)
	v_perm_b32 v2, v2, v4, s56
	s_waitcnt lgkmcnt(1)
	v_perm_b32 v4, v21, v22, s56
.LBB0_13:
	s_or_b64 exec, exec, s[4:5]
	v_add_f16_e32 v21, v32, v51
	v_add_f16_e32 v21, v21, v48
	;; [unrolled: 1-line block ×17, first 2 shown]
	v_sub_f16_e32 v22, v50, v55
	v_mul_f16_e32 v23, 0xb461, v21
	v_add_f16_e32 v24, v48, v24
	v_fma_f16 v50, v22, s42, v23
	v_fma_f16 v23, v22, s41, v23
	v_sub_f16_e32 v47, v47, v53
	v_mul_f16_e32 v48, 0xbacd, v24
	v_add_f16_e32 v25, v46, v25
	v_add_f16_e32 v23, v32, v23
	v_mul_f16_e32 v51, 0xb8d2, v21
	v_fma_f16 v53, v47, s54, v48
	v_fma_f16 v48, v47, s55, v48
	v_sub_f16_e32 v44, v44, v52
	v_mul_f16_e32 v46, 0x39e9, v25
	v_add_f16_e32 v26, v43, v26
	v_add_f16_e32 v50, v32, v50
	v_fma_f16 v55, v22, s47, v51
	v_fma_f16 v51, v22, s44, v51
	v_add_f16_e32 v23, v48, v23
	v_mul_f16_e32 v48, 0xb461, v24
	v_fma_f16 v52, v44, s53, v46
	v_fma_f16 v46, v44, s50, v46
	v_sub_f16_e32 v42, v42, v49
	v_mul_f16_e32 v43, 0x3722, v26
	v_add_f16_e32 v27, v41, v27
	v_add_f16_e32 v51, v32, v51
	v_mul_f16_e32 v57, 0xbacd, v21
	s_movk_i32 s4, 0x31e1
	v_add_f16_e32 v50, v53, v50
	v_fma_f16 v53, v47, s41, v48
	v_fma_f16 v48, v47, s42, v48
	v_add_f16_e32 v23, v46, v23
	v_mul_f16_e32 v46, 0x3b76, v25
	v_fma_f16 v49, v42, s45, v43
	v_fma_f16 v43, v42, s46, v43
	v_sub_f16_e32 v40, v40, v45
	v_mul_f16_e32 v41, 0xbbdd, v27
	v_add_f16_e32 v55, v32, v55
	v_fma_f16 v58, v22, s55, v57
	v_fma_f16 v57, v22, s54, v57
	v_add_f16_e32 v48, v48, v51
	v_mul_f16_e32 v51, 0x3722, v24
	v_add_f16_e32 v50, v52, v50
	v_fma_f16 v52, v44, s51, v46
	v_fma_f16 v46, v44, s52, v46
	v_add_f16_e32 v23, v43, v23
	v_mul_f16_e32 v43, 0xbacd, v26
	v_fma_f16 v45, v40, s4, v41
	v_fma_f16 v41, v40, s49, v41
	v_add_f16_e32 v57, v32, v57
	v_mul_f16_e32 v59, 0xbbdd, v21
	v_add_f16_e32 v53, v53, v55
	v_fma_f16 v55, v47, s46, v51
	v_fma_f16 v51, v47, s45, v51
	v_add_f16_e32 v46, v46, v48
	v_mul_f16_e32 v48, 0x2de8, v25
	v_add_f16_e32 v49, v49, v50
	;; [unrolled: 5-line block ×3, first 2 shown]
	v_add_f16_e32 v58, v32, v58
	v_fma_f16 v60, v22, s4, v59
	v_fma_f16 v59, v22, s49, v59
	v_add_f16_e32 v51, v51, v57
	v_mul_f16_e32 v57, 0x3b76, v24
	v_add_f16_e32 v52, v52, v53
	v_fma_f16 v53, v44, s48, v48
	v_fma_f16 v48, v44, s43, v48
	v_add_f16_e32 v43, v43, v46
	v_mul_f16_e32 v46, 0xb8d2, v26
	v_add_f16_e32 v45, v45, v49
	v_fma_f16 v49, v40, s43, v41
	v_fma_f16 v41, v40, s48, v41
	v_sub_f16_e32 v29, v37, v29
	v_mul_f16_e32 v37, 0x2de8, v28
	v_add_f16_e32 v36, v36, v9
	v_add_f16_e32 v59, v32, v59
	;; [unrolled: 1-line block ×3, first 2 shown]
	v_fma_f16 v58, v47, s52, v57
	v_fma_f16 v57, v47, s51, v57
	v_add_f16_e32 v48, v48, v51
	v_mul_f16_e32 v51, 0xbacd, v25
	v_add_f16_e32 v50, v50, v52
	v_fma_f16 v52, v42, s44, v46
	v_fma_f16 v46, v42, s47, v46
	v_add_f16_e32 v41, v41, v43
	v_mul_f16_e32 v43, 0x3b76, v27
	v_fma_f16 v39, v29, s43, v37
	v_fma_f16 v37, v29, s48, v37
	v_sub_f16_e32 v35, v35, v38
	v_mul_f16_e32 v9, 0x3b76, v36
	v_add_f16_e32 v57, v57, v59
	v_add_f16_e32 v53, v53, v55
	v_fma_f16 v55, v44, s55, v51
	v_fma_f16 v51, v44, s54, v51
	v_add_f16_e32 v46, v46, v48
	v_mul_f16_e32 v48, 0x39e9, v26
	v_add_f16_e32 v49, v49, v50
	v_fma_f16 v50, v40, s51, v43
	v_fma_f16 v43, v40, s52, v43
	v_add_f16_e32 v23, v37, v23
	v_mul_f16_e32 v37, 0x39e9, v28
	v_fma_f16 v38, v35, s51, v9
	v_fma_f16 v9, v35, s52, v9
	v_add_f16_e32 v51, v51, v57
	v_add_f16_e32 v52, v52, v53
	v_fma_f16 v53, v42, s53, v48
	v_fma_f16 v48, v42, s50, v48
	v_add_f16_e32 v43, v43, v46
	v_mul_f16_e32 v46, 0xb8d2, v27
	v_add_f16_e32 v39, v39, v45
	v_fma_f16 v45, v29, s50, v37
	v_fma_f16 v37, v29, s53, v37
	v_add_f16_e32 v23, v9, v23
	v_mul_f16_e32 v9, 0xbbdd, v36
	;; [unrolled: 5-line block ×3, first 2 shown]
	v_add_f16_e32 v38, v38, v39
	v_fma_f16 v39, v35, s4, v9
	v_fma_f16 v9, v35, s49, v9
	v_add_f16_e32 v60, v32, v60
	v_add_f16_e32 v46, v46, v48
	;; [unrolled: 1-line block ×3, first 2 shown]
	v_fma_f16 v48, v29, s4, v41
	v_fma_f16 v41, v29, s49, v41
	v_add_f16_e32 v37, v9, v37
	v_mul_f16_e32 v9, 0x39e9, v36
	v_add_f16_e32 v58, v58, v60
	v_add_f16_e32 v41, v41, v43
	v_mul_f16_e32 v43, 0x3722, v28
	v_add_f16_e32 v39, v39, v45
	v_fma_f16 v45, v35, s53, v9
	v_fma_f16 v9, v35, s50, v9
	v_add_f16_e32 v55, v55, v58
	v_fma_f16 v49, v29, s46, v43
	v_fma_f16 v43, v29, s45, v43
	v_add_f16_e32 v41, v9, v41
	v_mul_f16_e32 v9, 0xb461, v36
	v_add_f16_e32 v53, v53, v55
	v_add_f16_e32 v50, v50, v52
	;; [unrolled: 1-line block ×3, first 2 shown]
	v_fma_f16 v46, v35, s42, v9
	v_fma_f16 v9, v35, s41, v9
	v_add_f16_e32 v51, v51, v53
	v_add_f16_e32 v48, v48, v50
	;; [unrolled: 1-line block ×3, first 2 shown]
	v_pk_mul_f16 v9, v21, s15 op_sel_hi:[0,1]
	v_add_f16_e32 v49, v49, v51
	v_add_f16_e32 v45, v45, v48
	;; [unrolled: 1-line block ×3, first 2 shown]
	v_sub_f16_e32 v31, v33, v34
	v_pk_fma_f16 v33, v22, s6, v9 op_sel_hi:[0,1,1] neg_lo:[1,0,0] neg_hi:[1,0,0]
	v_pk_fma_f16 v9, v22, s6, v9 op_sel_hi:[0,1,1]
	v_pk_mul_f16 v48, v24, s19 op_sel_hi:[0,1]
	v_add_f16_e32 v46, v46, v49
	v_pk_add_f16 v9, v32, v9 op_sel_hi:[0,1]
	v_pk_fma_f16 v49, v47, s10, v48 op_sel_hi:[0,1,1] neg_lo:[1,0,0] neg_hi:[1,0,0]
	v_pk_fma_f16 v48, v47, s10, v48 op_sel_hi:[0,1,1]
	v_add_f16_e32 v34, v32, v33
	v_add_f16_sdwa v33, v32, v33 dst_sel:DWORD dst_unused:UNUSED_PAD src0_sel:DWORD src1_sel:WORD_1
	v_pk_add_f16 v9, v48, v9
	v_pk_mul_f16 v48, v25, s24 op_sel_hi:[0,1]
	v_add_f16_e32 v34, v49, v34
	v_add_f16_sdwa v33, v49, v33 dst_sel:DWORD dst_unused:UNUSED_PAD src0_sel:WORD_1 src1_sel:DWORD
	v_pk_fma_f16 v49, v44, s12, v48 op_sel_hi:[0,1,1] neg_lo:[1,0,0] neg_hi:[1,0,0]
	v_pk_fma_f16 v48, v44, s12, v48 op_sel_hi:[0,1,1]
	v_pk_add_f16 v9, v48, v9
	v_pk_mul_f16 v48, v26, s28 op_sel_hi:[0,1]
	v_add_f16_e32 v34, v49, v34
	v_add_f16_sdwa v33, v49, v33 dst_sel:DWORD dst_unused:UNUSED_PAD src0_sel:WORD_1 src1_sel:DWORD
	v_pk_fma_f16 v49, v42, s16, v48 op_sel_hi:[0,1,1] neg_lo:[1,0,0] neg_hi:[1,0,0]
	v_pk_fma_f16 v48, v42, s16, v48 op_sel_hi:[0,1,1]
	;; [unrolled: 6-line block ×6, first 2 shown]
	v_pk_mul_f16 v21, v21, s38 op_sel_hi:[0,1]
	v_pk_add_f16 v9, v48, v9
	v_pk_fma_f16 v48, v22, s30, v21 op_sel_hi:[0,1,1] neg_lo:[1,0,0] neg_hi:[1,0,0]
	v_pk_fma_f16 v21, v22, s30, v21 op_sel_hi:[0,1,1]
	v_pk_mul_f16 v22, v24, s36 op_sel_hi:[0,1]
	v_pk_add_f16 v21, v32, v21 op_sel_hi:[0,1]
	v_pk_fma_f16 v24, v47, s26, v22 op_sel_hi:[0,1,1] neg_lo:[1,0,0] neg_hi:[1,0,0]
	v_pk_fma_f16 v22, v47, s26, v22 op_sel_hi:[0,1,1]
	v_pk_add_f16 v21, v22, v21
	v_pk_mul_f16 v22, v25, s34 op_sel_hi:[0,1]
	v_add_f16_e32 v34, v49, v34
	v_add_f16_sdwa v33, v49, v33 dst_sel:DWORD dst_unused:UNUSED_PAD src0_sel:WORD_1 src1_sel:DWORD
	v_add_f16_e32 v49, v32, v48
	v_add_f16_sdwa v48, v32, v48 dst_sel:DWORD dst_unused:UNUSED_PAD src0_sel:DWORD src1_sel:WORD_1
	v_pk_fma_f16 v25, v44, s21, v22 op_sel_hi:[0,1,1] neg_lo:[1,0,0] neg_hi:[1,0,0]
	v_pk_fma_f16 v22, v44, s21, v22 op_sel_hi:[0,1,1]
	v_add_f16_e32 v32, v24, v49
	v_add_f16_sdwa v24, v24, v48 dst_sel:DWORD dst_unused:UNUSED_PAD src0_sel:WORD_1 src1_sel:DWORD
	v_pk_add_f16 v21, v22, v21
	v_pk_mul_f16 v22, v26, s31 op_sel_hi:[0,1]
	v_add_f16_e32 v32, v25, v32
	v_add_f16_sdwa v24, v25, v24 dst_sel:DWORD dst_unused:UNUSED_PAD src0_sel:WORD_1 src1_sel:DWORD
	v_pk_fma_f16 v25, v42, s17, v22 op_sel_hi:[0,1,1] neg_lo:[1,0,0] neg_hi:[1,0,0]
	v_pk_fma_f16 v22, v42, s17, v22 op_sel_hi:[0,1,1]
	v_pk_add_f16 v21, v22, v21
	v_pk_mul_f16 v22, v27, s27 op_sel_hi:[0,1]
	v_add_f16_e32 v26, v25, v32
	v_add_f16_sdwa v24, v25, v24 dst_sel:DWORD dst_unused:UNUSED_PAD src0_sel:WORD_1 src1_sel:DWORD
	v_pk_fma_f16 v25, v40, s13, v22 op_sel_hi:[0,1,1] neg_lo:[1,0,0] neg_hi:[1,0,0]
	v_pk_fma_f16 v22, v40, s13, v22 op_sel_hi:[0,1,1]
	;; [unrolled: 6-line block ×5, first 2 shown]
	v_pk_add_f16 v22, v22, v21
	v_mul_f16_e32 v21, 0xb8d2, v30
	v_add_f16_e32 v26, v25, v26
	v_add_f16_sdwa v24, v25, v24 dst_sel:DWORD dst_unused:UNUSED_PAD src0_sel:WORD_1 src1_sel:DWORD
	v_fma_f16 v25, v31, s47, v21
	v_fma_f16 v21, v31, s44, v21
	v_add_f16_e32 v21, v21, v23
	v_mul_f16_e32 v23, 0x3722, v30
	v_fma_f16 v27, v31, s46, v23
	v_fma_f16 v23, v31, s45, v23
	v_mul_f16_e32 v28, 0xb461, v30
	v_mul_f16_e32 v30, 0x2de8, v30
	v_add_f16_e32 v23, v23, v37
	v_fma_f16 v29, v31, s42, v28
	v_fma_f16 v28, v31, s41, v28
	;; [unrolled: 1-line block ×4, first 2 shown]
	v_add_f16_e32 v25, v25, v38
	v_add_f16_e32 v27, v27, v39
	;; [unrolled: 1-line block ×6, first 2 shown]
	s_waitcnt lgkmcnt(0)
	s_barrier
	ds_write_b16 v54, v56
	ds_write_b16 v54, v34 offset:34
	ds_write_b16 v54, v33 offset:68
	;; [unrolled: 1-line block ×12, first 2 shown]
	v_lshrrev_b32_e32 v23, 16, v22
	v_lshrrev_b32_e32 v24, 16, v9
	ds_write_b16 v54, v23 offset:442
	ds_write_b16 v54, v22 offset:476
	;; [unrolled: 1-line block ×4, first 2 shown]
	s_waitcnt lgkmcnt(0)
	s_barrier
	ds_read_u16 v26, v17
	ds_read_u16 v30, v17 offset:2312
	ds_read_u16 v32, v17 offset:1938
	;; [unrolled: 1-line block ×11, first 2 shown]
                                        ; implicit-def: $vgpr25
	s_and_saveexec_b64 s[4:5], s[0:1]
	s_cbranch_execz .LBB0_15
; %bb.14:
	ds_read_u16 v21, v17 offset:408
	ds_read_u16 v23, v17 offset:986
	;; [unrolled: 1-line block ×6, first 2 shown]
.LBB0_15:
	s_or_b64 exec, exec, s[4:5]
	s_and_saveexec_b64 s[4:5], vcc
	s_cbranch_execz .LBB0_18
; %bb.16:
	v_add_u32_e32 v42, 0x66, v16
	v_mul_u32_u24_e32 v17, 5, v16
	v_mul_u32_u24_e32 v42, 5, v42
	v_lshlrev_b32_e32 v17, 2, v17
	v_lshlrev_b32_e32 v46, 2, v42
	global_load_dwordx4 v[38:41], v17, s[8:9] offset:1088
	global_load_dwordx4 v[42:45], v46, s[8:9] offset:1088
	global_load_dword v47, v46, s[8:9] offset:1104
	s_mov_b32 s5, 0xbaee
	global_load_dword v17, v17, s[8:9] offset:1104
	s_movk_i32 s4, 0x3aee
	v_add_co_u32_e32 v18, vcc, s2, v18
	s_movk_i32 s2, 0x1000
	s_waitcnt vmcnt(2)
	v_lshrrev_b32_e32 v53, 16, v44
	s_waitcnt vmcnt(1)
	v_lshrrev_b32_e32 v60, 16, v47
	v_mul_f16_sdwa v49, v15, v39 dst_sel:DWORD dst_unused:UNUSED_PAD src0_sel:DWORD src1_sel:WORD_1
	s_waitcnt lgkmcnt(6)
	v_mul_f16_sdwa v51, v36, v39 dst_sel:DWORD dst_unused:UNUSED_PAD src0_sel:DWORD src1_sel:WORD_1
	v_lshrrev_b32_e32 v52, 16, v42
	v_mul_f16_sdwa v54, v14, v43 dst_sel:DWORD dst_unused:UNUSED_PAD src0_sel:DWORD src1_sel:WORD_1
	v_mul_f16_sdwa v56, v35, v43 dst_sel:DWORD dst_unused:UNUSED_PAD src0_sel:DWORD src1_sel:WORD_1
	s_waitcnt lgkmcnt(0)
	v_mul_f16_sdwa v57, v37, v45 dst_sel:DWORD dst_unused:UNUSED_PAD src0_sel:DWORD src1_sel:WORD_1
	v_mul_f16_e32 v58, v12, v42
	v_mul_f16_e32 v59, v11, v44
	;; [unrolled: 1-line block ×5, first 2 shown]
	v_mul_f16_sdwa v55, v20, v45 dst_sel:DWORD dst_unused:UNUSED_PAD src0_sel:DWORD src1_sel:WORD_1
	v_fma_f16 v36, v36, v39, -v49
	v_fma_f16 v15, v15, v39, v51
	v_fma_f16 v35, v35, v43, -v54
	v_fma_f16 v14, v14, v43, v56
	v_fma_f16 v20, v20, v45, v57
	;; [unrolled: 1-line block ×4, first 2 shown]
	v_mul_f16_e32 v12, v12, v52
	v_fma_f16 v11, v32, v44, -v11
	v_fma_f16 v13, v34, v47, -v13
	;; [unrolled: 1-line block ×3, first 2 shown]
	v_fma_f16 v45, v34, v60, v61
	v_sub_f16_e32 v52, v14, v20
	v_fma_f16 v12, v33, v42, -v12
	v_add_f16_e32 v34, v14, v20
	v_add_f16_e32 v14, v10, v14
	;; [unrolled: 1-line block ×6, first 2 shown]
	v_sub_f16_e32 v32, v43, v45
	v_add_f16_e32 v33, v31, v35
	v_sub_f16_e32 v35, v35, v37
	v_sub_f16_e32 v44, v11, v13
	v_add_f16_e32 v11, v12, v11
	v_fma_f16 v10, v34, -0.5, v10
	v_add_f16_e32 v14, v14, v20
	v_add_f16_e32 v20, v42, v45
	v_fma_f16 v12, v47, -0.5, v12
	v_fma_f16 v39, v53, -0.5, v39
	v_add_f16_e32 v11, v11, v13
	v_fma_f16 v13, v35, s4, v10
	v_fma_f16 v10, v35, s5, v10
	v_sub_f16_e32 v35, v14, v20
	v_add_f16_e32 v14, v14, v20
	v_fma_f16 v20, v32, s5, v12
	v_fma_f16 v12, v32, s4, v12
	v_add_f16_e32 v33, v33, v37
	v_fma_f16 v37, v44, s4, v39
	v_fma_f16 v39, v44, s5, v39
	v_mul_f16_e32 v42, 0.5, v12
	v_mul_f16_e32 v12, 0xbaee, v12
	v_fma_f16 v12, v39, 0.5, v12
	v_mul_f16_sdwa v50, v8, v41 dst_sel:DWORD dst_unused:UNUSED_PAD src0_sel:DWORD src1_sel:WORD_1
	v_fma_f16 v31, v51, -0.5, v31
	v_sub_f16_e32 v32, v33, v11
	v_add_f16_e32 v11, v33, v11
	v_mul_f16_e32 v33, -0.5, v20
	v_sub_f16_e32 v45, v10, v12
	v_add_f16_e32 v10, v10, v12
	v_mul_f16_sdwa v12, v30, v41 dst_sel:DWORD dst_unused:UNUSED_PAD src0_sel:DWORD src1_sel:WORD_1
	v_lshrrev_b32_e32 v48, 16, v40
	v_fma_f16 v49, v30, v41, -v50
	v_fma_f16 v34, v52, s5, v31
	v_fma_f16 v31, v52, s4, v31
	v_mul_f16_e32 v20, 0xbaee, v20
	v_fma_f16 v33, v37, s4, v33
	v_fma_f16 v42, v39, s4, v42
	;; [unrolled: 1-line block ×3, first 2 shown]
	s_waitcnt vmcnt(0)
	v_lshrrev_b32_e32 v41, 16, v17
	v_lshrrev_b32_e32 v46, 16, v38
	v_fma_f16 v20, v37, -0.5, v20
	v_sub_f16_e32 v37, v34, v33
	v_sub_f16_e32 v39, v31, v42
	v_add_f16_e32 v33, v34, v33
	v_add_f16_e32 v31, v31, v42
	v_mul_f16_e32 v34, v6, v40
	v_mul_f16_e32 v42, v7, v17
	;; [unrolled: 1-line block ×5, first 2 shown]
	v_fma_f16 v6, v28, v40, -v6
	v_fma_f16 v7, v29, v17, -v7
	v_mul_f16_e32 v1, v1, v46
	v_fma_f16 v30, v27, v46, v30
	v_fma_f16 v1, v27, v38, -v1
	v_add_f16_e32 v27, v6, v7
	v_fma_f16 v34, v28, v48, v34
	v_fma_f16 v42, v29, v41, v42
	v_fma_f16 v27, v27, -0.5, v1
	v_add_f16_e32 v1, v1, v6
	v_add_f16_e32 v47, v34, v42
	v_sub_f16_e32 v17, v6, v7
	v_sub_f16_e32 v29, v34, v42
	v_add_f16_e32 v1, v1, v7
	v_add_f16_e32 v7, v15, v8
	;; [unrolled: 1-line block ×3, first 2 shown]
	v_fma_f16 v47, v47, -0.5, v30
	v_fma_f16 v38, v29, s5, v27
	v_fma_f16 v27, v29, s4, v27
	v_fma_f16 v7, v7, -0.5, v0
	v_add_f16_e32 v0, v0, v15
	v_fma_f16 v43, v50, -0.5, v26
	v_sub_f16_e32 v12, v15, v8
	v_fma_f16 v28, v17, s4, v47
	v_fma_f16 v17, v17, s5, v47
	v_mul_f16_e32 v29, 0.5, v27
	v_add_f16_e32 v26, v26, v36
	v_sub_f16_e32 v36, v36, v49
	v_mul_f16_e32 v27, 0xbaee, v27
	v_add_f16_e32 v0, v0, v8
	v_add_f16_e32 v8, v30, v34
	v_fma_f16 v29, v17, s4, v29
	v_fma_f16 v46, v36, s4, v7
	v_fma_f16 v7, v36, s5, v7
	v_fma_f16 v17, v17, 0.5, v27
	v_add_f16_e32 v8, v8, v42
	v_add_f16_e32 v26, v26, v49
	v_sub_f16_e32 v27, v7, v17
	v_sub_f16_e32 v15, v0, v8
	v_add_f16_e32 v7, v7, v17
	v_add_f16_e32 v8, v0, v8
	v_mov_b32_e32 v17, 0
	v_mov_b32_e32 v0, s3
	v_sub_f16_e32 v6, v26, v1
	v_add_f16_e32 v26, v26, v1
	v_addc_co_u32_e32 v19, vcc, v0, v19, vcc
	v_lshlrev_b64 v[0:1], 2, v[16:17]
	v_sub_f16_e32 v44, v13, v20
	v_add_f16_e32 v13, v13, v20
	v_fma_f16 v20, v12, s5, v43
	v_mul_f16_e32 v40, -0.5, v38
	v_fma_f16 v12, v12, s4, v43
	v_mul_f16_e32 v38, 0xbaee, v38
	v_fma_f16 v40, v28, s4, v40
	v_sub_f16_e32 v43, v12, v29
	v_fma_f16 v28, v28, -0.5, v38
	v_add_f16_e32 v12, v12, v29
	v_add_co_u32_e32 v0, vcc, v18, v0
	v_sub_f16_e32 v41, v20, v40
	v_sub_f16_e32 v38, v46, v28
	v_add_f16_e32 v20, v20, v40
	v_add_f16_e32 v28, v46, v28
	v_addc_co_u32_e32 v1, vcc, v19, v1, vcc
	v_pack_b32_f16 v7, v7, v12
	v_pack_b32_f16 v6, v15, v6
	;; [unrolled: 1-line block ×3, first 2 shown]
	global_store_dword v[0:1], v7, off offset:1156
	v_pack_b32_f16 v7, v28, v20
	global_store_dword v[0:1], v6, off offset:3468
	v_add_co_u32_e32 v6, vcc, s2, v0
	global_store_dword v[0:1], v8, off
	global_store_dword v[0:1], v7, off offset:2312
	v_pack_b32_f16 v8, v27, v43
	v_addc_co_u32_e32 v7, vcc, 0, v1, vcc
	global_store_dword v[6:7], v8, off offset:528
	v_pack_b32_f16 v8, v38, v41
	global_store_dword v[6:7], v8, off offset:1684
	v_pack_b32_f16 v8, v14, v11
	;; [unrolled: 2-line block ×7, first 2 shown]
	global_store_dword v[6:7], v8, off offset:2092
	s_and_b64 exec, exec, s[0:1]
	s_cbranch_execz .LBB0_18
; %bb.17:
	v_mov_b32_e32 v6, 0xffffffab
	v_mov_b32_e32 v7, 0xcc
	v_cndmask_b32_e64 v6, v6, v7, s[0:1]
	v_add_u32_e32 v6, v16, v6
	v_mul_i32_i24_e32 v16, 5, v6
	v_lshlrev_b64 v[6:7], 2, v[16:17]
	v_mov_b32_e32 v8, s9
	v_add_co_u32_e32 v6, vcc, s8, v6
	v_addc_co_u32_e32 v7, vcc, v8, v7, vcc
	global_load_dwordx4 v[10:13], v[6:7], off offset:1088
	global_load_dword v8, v[6:7], off offset:1104
	v_lshrrev_b32_e32 v14, 16, v4
	v_lshrrev_b32_e32 v15, 16, v2
	v_add_co_u32_e32 v6, vcc, 0x1000, v0
	v_addc_co_u32_e32 v7, vcc, 0, v1, vcc
	s_waitcnt vmcnt(1)
	v_mul_f16_sdwa v16, v23, v10 dst_sel:DWORD dst_unused:UNUSED_PAD src0_sel:DWORD src1_sel:WORD_1
	v_mul_f16_sdwa v17, v14, v10 dst_sel:DWORD dst_unused:UNUSED_PAD src0_sel:DWORD src1_sel:WORD_1
	;; [unrolled: 1-line block ×4, first 2 shown]
	s_waitcnt vmcnt(0)
	v_mul_f16_sdwa v29, v25, v8 dst_sel:DWORD dst_unused:UNUSED_PAD src0_sel:DWORD src1_sel:WORD_1
	v_mul_f16_sdwa v30, v5, v8 dst_sel:DWORD dst_unused:UNUSED_PAD src0_sel:DWORD src1_sel:WORD_1
	;; [unrolled: 1-line block ×6, first 2 shown]
	v_fma_f16 v14, v14, v10, v16
	v_fma_f16 v10, v23, v10, -v17
	v_fma_f16 v15, v15, v12, v20
	v_fma_f16 v12, v24, v12, -v26
	;; [unrolled: 2-line block ×5, first 2 shown]
	v_sub_f16_e32 v22, v12, v8
	v_add_f16_e32 v23, v10, v12
	v_add_f16_e32 v12, v12, v8
	;; [unrolled: 1-line block ×4, first 2 shown]
	v_sub_f16_e32 v17, v11, v9
	v_add_f16_e32 v18, v21, v11
	v_add_f16_e32 v11, v11, v9
	;; [unrolled: 1-line block ×4, first 2 shown]
	v_sub_f16_e32 v15, v15, v5
	v_fma_f16 v10, v12, -0.5, v10
	v_sub_f16_e32 v4, v4, v2
	v_add_f16_e32 v2, v13, v2
	v_fma_f16 v3, v16, -0.5, v3
	v_add_f16_e32 v9, v18, v9
	v_fma_f16 v11, v11, -0.5, v21
	;; [unrolled: 2-line block ×3, first 2 shown]
	v_add_f16_e32 v8, v23, v8
	v_fma_f16 v16, v15, s4, v10
	v_fma_f16 v10, v15, s5, v10
	;; [unrolled: 1-line block ×8, first 2 shown]
	v_add_f16_e32 v15, v2, v5
	v_add_f16_e32 v17, v9, v8
	v_sub_f16_e32 v2, v2, v5
	v_sub_f16_e32 v5, v9, v8
	v_mul_f16_e32 v8, 0xbaee, v16
	v_mul_f16_e32 v9, 0xbaee, v10
	v_mul_f16_e32 v16, 0.5, v16
	v_mul_f16_e32 v10, -0.5, v10
	v_pack_b32_f16 v15, v15, v17
	v_pack_b32_f16 v2, v2, v5
	v_fma_f16 v5, v11, 0.5, v8
	v_fma_f16 v8, v13, -0.5, v9
	v_fma_f16 v9, v11, s4, v16
	v_fma_f16 v10, v13, s4, v10
	global_store_dword v[0:1], v15, off offset:816
	global_store_dword v[6:7], v2, off offset:188
	v_add_f16_e32 v2, v12, v5
	v_add_f16_e32 v13, v14, v9
	;; [unrolled: 1-line block ×4, first 2 shown]
	v_sub_f16_e32 v5, v12, v5
	v_sub_f16_e32 v3, v3, v8
	;; [unrolled: 1-line block ×4, first 2 shown]
	v_pack_b32_f16 v2, v2, v13
	v_pack_b32_f16 v9, v11, v15
	;; [unrolled: 1-line block ×3, first 2 shown]
	global_store_dword v[0:1], v2, off offset:1972
	global_store_dword v[0:1], v9, off offset:3128
	;; [unrolled: 1-line block ×3, first 2 shown]
	v_pack_b32_f16 v0, v3, v4
	global_store_dword v[6:7], v0, off offset:2500
.LBB0_18:
	s_endpgm
	.section	.rodata,"a",@progbits
	.p2align	6, 0x0
	.amdhsa_kernel fft_rtc_back_len1734_factors_17_17_6_wgs_102_tpt_102_halfLds_half_ip_CI_unitstride_sbrr_dirReg
		.amdhsa_group_segment_fixed_size 0
		.amdhsa_private_segment_fixed_size 0
		.amdhsa_kernarg_size 88
		.amdhsa_user_sgpr_count 6
		.amdhsa_user_sgpr_private_segment_buffer 1
		.amdhsa_user_sgpr_dispatch_ptr 0
		.amdhsa_user_sgpr_queue_ptr 0
		.amdhsa_user_sgpr_kernarg_segment_ptr 1
		.amdhsa_user_sgpr_dispatch_id 0
		.amdhsa_user_sgpr_flat_scratch_init 0
		.amdhsa_user_sgpr_private_segment_size 0
		.amdhsa_uses_dynamic_stack 0
		.amdhsa_system_sgpr_private_segment_wavefront_offset 0
		.amdhsa_system_sgpr_workgroup_id_x 1
		.amdhsa_system_sgpr_workgroup_id_y 0
		.amdhsa_system_sgpr_workgroup_id_z 0
		.amdhsa_system_sgpr_workgroup_info 0
		.amdhsa_system_vgpr_workitem_id 0
		.amdhsa_next_free_vgpr 90
		.amdhsa_next_free_sgpr 69
		.amdhsa_reserve_vcc 1
		.amdhsa_reserve_flat_scratch 0
		.amdhsa_float_round_mode_32 0
		.amdhsa_float_round_mode_16_64 0
		.amdhsa_float_denorm_mode_32 3
		.amdhsa_float_denorm_mode_16_64 3
		.amdhsa_dx10_clamp 1
		.amdhsa_ieee_mode 1
		.amdhsa_fp16_overflow 0
		.amdhsa_exception_fp_ieee_invalid_op 0
		.amdhsa_exception_fp_denorm_src 0
		.amdhsa_exception_fp_ieee_div_zero 0
		.amdhsa_exception_fp_ieee_overflow 0
		.amdhsa_exception_fp_ieee_underflow 0
		.amdhsa_exception_fp_ieee_inexact 0
		.amdhsa_exception_int_div_zero 0
	.end_amdhsa_kernel
	.text
.Lfunc_end0:
	.size	fft_rtc_back_len1734_factors_17_17_6_wgs_102_tpt_102_halfLds_half_ip_CI_unitstride_sbrr_dirReg, .Lfunc_end0-fft_rtc_back_len1734_factors_17_17_6_wgs_102_tpt_102_halfLds_half_ip_CI_unitstride_sbrr_dirReg
                                        ; -- End function
	.section	.AMDGPU.csdata,"",@progbits
; Kernel info:
; codeLenInByte = 12200
; NumSgprs: 73
; NumVgprs: 90
; ScratchSize: 0
; MemoryBound: 0
; FloatMode: 240
; IeeeMode: 1
; LDSByteSize: 0 bytes/workgroup (compile time only)
; SGPRBlocks: 9
; VGPRBlocks: 22
; NumSGPRsForWavesPerEU: 73
; NumVGPRsForWavesPerEU: 90
; Occupancy: 2
; WaveLimiterHint : 1
; COMPUTE_PGM_RSRC2:SCRATCH_EN: 0
; COMPUTE_PGM_RSRC2:USER_SGPR: 6
; COMPUTE_PGM_RSRC2:TRAP_HANDLER: 0
; COMPUTE_PGM_RSRC2:TGID_X_EN: 1
; COMPUTE_PGM_RSRC2:TGID_Y_EN: 0
; COMPUTE_PGM_RSRC2:TGID_Z_EN: 0
; COMPUTE_PGM_RSRC2:TIDIG_COMP_CNT: 0
	.type	__hip_cuid_e1911a3c6ee86647,@object ; @__hip_cuid_e1911a3c6ee86647
	.section	.bss,"aw",@nobits
	.globl	__hip_cuid_e1911a3c6ee86647
__hip_cuid_e1911a3c6ee86647:
	.byte	0                               ; 0x0
	.size	__hip_cuid_e1911a3c6ee86647, 1

	.ident	"AMD clang version 19.0.0git (https://github.com/RadeonOpenCompute/llvm-project roc-6.4.0 25133 c7fe45cf4b819c5991fe208aaa96edf142730f1d)"
	.section	".note.GNU-stack","",@progbits
	.addrsig
	.addrsig_sym __hip_cuid_e1911a3c6ee86647
	.amdgpu_metadata
---
amdhsa.kernels:
  - .args:
      - .actual_access:  read_only
        .address_space:  global
        .offset:         0
        .size:           8
        .value_kind:     global_buffer
      - .offset:         8
        .size:           8
        .value_kind:     by_value
      - .actual_access:  read_only
        .address_space:  global
        .offset:         16
        .size:           8
        .value_kind:     global_buffer
      - .actual_access:  read_only
        .address_space:  global
        .offset:         24
        .size:           8
        .value_kind:     global_buffer
      - .offset:         32
        .size:           8
        .value_kind:     by_value
      - .actual_access:  read_only
        .address_space:  global
        .offset:         40
        .size:           8
        .value_kind:     global_buffer
      - .actual_access:  read_only
        .address_space:  global
        .offset:         48
        .size:           8
        .value_kind:     global_buffer
      - .offset:         56
        .size:           4
        .value_kind:     by_value
      - .actual_access:  read_only
        .address_space:  global
        .offset:         64
        .size:           8
        .value_kind:     global_buffer
      - .actual_access:  read_only
        .address_space:  global
        .offset:         72
        .size:           8
        .value_kind:     global_buffer
      - .address_space:  global
        .offset:         80
        .size:           8
        .value_kind:     global_buffer
    .group_segment_fixed_size: 0
    .kernarg_segment_align: 8
    .kernarg_segment_size: 88
    .language:       OpenCL C
    .language_version:
      - 2
      - 0
    .max_flat_workgroup_size: 102
    .name:           fft_rtc_back_len1734_factors_17_17_6_wgs_102_tpt_102_halfLds_half_ip_CI_unitstride_sbrr_dirReg
    .private_segment_fixed_size: 0
    .sgpr_count:     73
    .sgpr_spill_count: 0
    .symbol:         fft_rtc_back_len1734_factors_17_17_6_wgs_102_tpt_102_halfLds_half_ip_CI_unitstride_sbrr_dirReg.kd
    .uniform_work_group_size: 1
    .uses_dynamic_stack: false
    .vgpr_count:     90
    .vgpr_spill_count: 0
    .wavefront_size: 64
amdhsa.target:   amdgcn-amd-amdhsa--gfx906
amdhsa.version:
  - 1
  - 2
...

	.end_amdgpu_metadata
